;; amdgpu-corpus repo=ROCm/rocFFT kind=compiled arch=gfx950 opt=O3
	.text
	.amdgcn_target "amdgcn-amd-amdhsa--gfx950"
	.amdhsa_code_object_version 6
	.protected	bluestein_single_fwd_len1105_dim1_dp_op_CI_CI ; -- Begin function bluestein_single_fwd_len1105_dim1_dp_op_CI_CI
	.globl	bluestein_single_fwd_len1105_dim1_dp_op_CI_CI
	.p2align	8
	.type	bluestein_single_fwd_len1105_dim1_dp_op_CI_CI,@function
bluestein_single_fwd_len1105_dim1_dp_op_CI_CI: ; @bluestein_single_fwd_len1105_dim1_dp_op_CI_CI
; %bb.0:
	s_load_dwordx4 s[4:7], s[0:1], 0x28
	v_mul_u32_u24_e32 v1, 0x304, v0
	v_lshrrev_b32_e32 v2, 16, v1
	v_mad_u64_u32 v[200:201], s[2:3], s2, 3, v[2:3]
	v_mov_b32_e32 v199, 0
	v_mov_b32_e32 v201, v199
	s_waitcnt lgkmcnt(0)
	v_cmp_gt_u64_e32 vcc, s[4:5], v[200:201]
	s_and_saveexec_b64 s[2:3], vcc
	s_cbranch_execz .LBB0_23
; %bb.1:
	v_mul_lo_u16_e32 v1, 0x55, v2
	s_mov_b32 s2, 0xaaaaaaab
	v_sub_u16_e32 v198, v0, v1
	v_mul_hi_u32 v0, v200, s2
	s_load_dwordx2 s[12:13], s[0:1], 0x0
	s_load_dwordx2 s[14:15], s[0:1], 0x38
	v_lshrrev_b32_e32 v0, 1, v0
	v_lshl_add_u32 v0, v0, 1, v0
	v_sub_u32_e32 v0, v200, v0
	v_mul_u32_u24_e32 v201, 0x451, v0
	s_movk_i32 s2, 0x41
	v_cmp_gt_u16_e64 s[4:5], s2, v198
	v_lshlrev_b32_e32 v194, 4, v198
	v_lshlrev_b32_e32 v202, 4, v201
	s_and_saveexec_b64 s[2:3], s[4:5]
	s_cbranch_execz .LBB0_3
; %bb.2:
	s_load_dwordx2 s[8:9], s[0:1], 0x18
	v_mov_b32_e32 v0, s6
	v_mov_b32_e32 v1, s7
	;; [unrolled: 1-line block ×3, first 2 shown]
	s_waitcnt lgkmcnt(0)
	v_lshl_add_u64 v[108:109], s[12:13], 0, v[194:195]
	s_load_dwordx4 s[8:11], s[8:9], 0x0
	v_mov_b32_e32 v22, 0x410
	v_lshl_add_u32 v140, v198, 4, v202
	s_waitcnt lgkmcnt(0)
	v_mad_u64_u32 v[2:3], s[6:7], s10, v200, 0
	v_mad_u64_u32 v[4:5], s[6:7], s8, v198, 0
	v_mov_b32_e32 v6, v3
	v_mov_b32_e32 v8, v5
	v_mad_u64_u32 v[6:7], s[6:7], s11, v200, v[6:7]
	v_mov_b32_e32 v3, v6
	v_mad_u64_u32 v[6:7], s[6:7], s9, v198, v[8:9]
	s_movk_i32 s6, 0x1000
	v_mov_b32_e32 v5, v6
	v_lshl_add_u64 v[0:1], v[2:3], 4, v[0:1]
	v_add_co_u32_e32 v40, vcc, s6, v108
	v_lshl_add_u64 v[20:21], v[4:5], 4, v[0:1]
	s_movk_i32 s7, 0x2000
	v_addc_co_u32_e32 v41, vcc, 0, v109, vcc
	global_load_dwordx4 v[0:3], v194, s[12:13]
	global_load_dwordx4 v[4:7], v[20:21], off
	v_add_co_u32_e32 v64, vcc, s7, v108
	s_mulk_i32 s9, 0x410
	v_mad_u64_u32 v[20:21], s[6:7], s8, v22, v[20:21]
	v_add_u32_e32 v21, s9, v21
	global_load_dwordx4 v[8:11], v194, s[12:13] offset:1040
	global_load_dwordx4 v[12:15], v194, s[12:13] offset:2080
	global_load_dwordx4 v[16:19], v194, s[12:13] offset:3120
	v_addc_co_u32_e32 v65, vcc, 0, v109, vcc
	global_load_dwordx4 v[24:27], v[40:41], off offset:64
	global_load_dwordx4 v[28:31], v[40:41], off offset:1104
	;; [unrolled: 1-line block ×4, first 2 shown]
	s_nop 0
	global_load_dwordx4 v[40:43], v[20:21], off
	global_load_dwordx4 v[44:47], v[64:65], off offset:128
	global_load_dwordx4 v[48:51], v[64:65], off offset:1168
	v_mad_u64_u32 v[20:21], s[6:7], s8, v22, v[20:21]
	v_add_u32_e32 v21, s9, v21
	s_movk_i32 s10, 0x4000
	global_load_dwordx4 v[52:55], v[20:21], off
	global_load_dwordx4 v[56:59], v[64:65], off offset:2208
	global_load_dwordx4 v[60:63], v[64:65], off offset:3248
	v_mad_u64_u32 v[20:21], s[6:7], s8, v22, v[20:21]
	v_add_co_u32_e32 v72, vcc, s10, v108
	v_add_u32_e32 v21, s9, v21
	s_nop 0
	v_addc_co_u32_e32 v73, vcc, 0, v109, vcc
	global_load_dwordx4 v[64:67], v[20:21], off
	global_load_dwordx4 v[68:71], v[72:73], off offset:256
	v_mad_u64_u32 v[20:21], s[6:7], s8, v22, v[20:21]
	v_add_u32_e32 v21, s9, v21
	global_load_dwordx4 v[72:75], v[20:21], off
	v_mad_u64_u32 v[20:21], s[6:7], s8, v22, v[20:21]
	v_add_u32_e32 v21, s9, v21
	global_load_dwordx4 v[76:79], v[20:21], off
	;; [unrolled: 3-line block ×6, first 2 shown]
	v_mad_u64_u32 v[20:21], s[6:7], s8, v22, v[20:21]
	v_add_u32_e32 v21, s9, v21
	v_mad_u64_u32 v[104:105], s[6:7], s8, v22, v[20:21]
	v_add_u32_e32 v105, s9, v105
	global_load_dwordx4 v[96:99], v[20:21], off
	v_mad_u64_u32 v[112:113], s[6:7], s8, v22, v[104:105]
	s_movk_i32 s6, 0x3000
	global_load_dwordx4 v[100:103], v[104:105], off
	v_add_co_u32_e32 v132, vcc, s6, v108
	v_add_u32_e32 v113, s9, v113
	s_nop 0
	v_addc_co_u32_e32 v133, vcc, 0, v109, vcc
	global_load_dwordx4 v[104:107], v[112:113], off
	global_load_dwordx4 v[108:111], v[132:133], off offset:192
	v_mad_u64_u32 v[120:121], s[6:7], s8, v22, v[112:113]
	v_add_u32_e32 v121, s9, v121
	global_load_dwordx4 v[112:115], v[120:121], off
	global_load_dwordx4 v[116:119], v[132:133], off offset:1232
	v_mad_u64_u32 v[128:129], s[6:7], s8, v22, v[120:121]
	v_add_u32_e32 v129, s9, v129
	;; [unrolled: 4-line block ×3, first 2 shown]
	global_load_dwordx4 v[128:131], v[136:137], off
	s_nop 0
	global_load_dwordx4 v[132:135], v[132:133], off offset:3312
	v_mad_u64_u32 v[22:23], s[6:7], s8, v22, v[136:137]
	v_add_u32_e32 v23, s9, v23
	global_load_dwordx4 v[136:139], v[22:23], off
	s_waitcnt vmcnt(32)
	v_mul_f64 v[20:21], v[6:7], v[2:3]
	v_mul_f64 v[2:3], v[4:5], v[2:3]
	v_fmac_f64_e32 v[20:21], v[4:5], v[0:1]
	v_fma_f64 v[22:23], v[6:7], v[0:1], -v[2:3]
	v_add_u32_e32 v4, v202, v194
	ds_write_b128 v140, v[20:23]
	s_waitcnt vmcnt(24)
	v_mul_f64 v[0:1], v[42:43], v[10:11]
	v_mul_f64 v[2:3], v[40:41], v[10:11]
	v_fmac_f64_e32 v[0:1], v[40:41], v[8:9]
	v_fma_f64 v[2:3], v[42:43], v[8:9], -v[2:3]
	ds_write_b128 v4, v[0:3] offset:1040
	s_waitcnt vmcnt(21)
	v_mul_f64 v[0:1], v[54:55], v[14:15]
	v_mul_f64 v[2:3], v[52:53], v[14:15]
	v_fmac_f64_e32 v[0:1], v[52:53], v[12:13]
	v_fma_f64 v[2:3], v[54:55], v[12:13], -v[2:3]
	ds_write_b128 v4, v[0:3] offset:2080
	;; [unrolled: 6-line block ×16, first 2 shown]
.LBB0_3:
	s_or_b64 exec, exec, s[2:3]
	s_load_dwordx2 s[2:3], s[0:1], 0x20
	s_load_dwordx2 s[6:7], s[0:1], 0x8
	s_waitcnt lgkmcnt(0)
	s_barrier
	s_waitcnt lgkmcnt(0)
                                        ; implicit-def: $vgpr8_vgpr9
                                        ; implicit-def: $vgpr12_vgpr13
                                        ; implicit-def: $vgpr16_vgpr17
                                        ; implicit-def: $vgpr20_vgpr21
                                        ; implicit-def: $vgpr24_vgpr25
                                        ; implicit-def: $vgpr28_vgpr29
                                        ; implicit-def: $vgpr32_vgpr33
                                        ; implicit-def: $vgpr36_vgpr37
                                        ; implicit-def: $vgpr40_vgpr41
                                        ; implicit-def: $vgpr44_vgpr45
                                        ; implicit-def: $vgpr48_vgpr49
                                        ; implicit-def: $vgpr52_vgpr53
                                        ; implicit-def: $vgpr56_vgpr57
                                        ; implicit-def: $vgpr60_vgpr61
                                        ; implicit-def: $vgpr64_vgpr65
                                        ; implicit-def: $vgpr68_vgpr69
                                        ; implicit-def: $vgpr72_vgpr73
	s_and_saveexec_b64 s[0:1], s[4:5]
	s_cbranch_execz .LBB0_5
; %bb.4:
	v_lshlrev_b32_e32 v0, 4, v198
	v_lshl_add_u32 v0, v201, 4, v0
	ds_read_b128 v[8:11], v0
	ds_read_b128 v[12:15], v0 offset:1040
	ds_read_b128 v[16:19], v0 offset:2080
	;; [unrolled: 1-line block ×16, first 2 shown]
.LBB0_5:
	s_or_b64 exec, exec, s[0:1]
	s_mov_b32 s26, 0x5d8e7cdc
	s_waitcnt lgkmcnt(0)
	v_add_f64 v[100:101], v[14:15], -v[74:75]
	s_mov_b32 s0, 0x370991
	s_mov_b32 s27, 0xbfd71e95
	;; [unrolled: 1-line block ×3, first 2 shown]
	v_add_f64 v[134:135], v[12:13], v[72:73]
	v_add_f64 v[104:105], v[12:13], -v[72:73]
	s_mov_b32 s1, 0x3fedd6d0
	v_mul_f64 v[80:81], v[100:101], s[26:27]
	s_mov_b32 s18, 0x75d4884
	s_mov_b32 s35, 0xbfe58eea
	v_add_f64 v[102:103], v[18:19], -v[70:71]
	v_add_f64 v[138:139], v[14:15], v[74:75]
	v_mul_f64 v[82:83], v[104:105], s[26:27]
	v_fma_f64 v[0:1], s[0:1], v[134:135], v[80:81]
	s_mov_b32 s19, 0x3fe7a5f6
	s_mov_b32 s30, 0x7c9e640b
	v_add_f64 v[142:143], v[16:17], v[68:69]
	v_add_f64 v[106:107], v[16:17], -v[68:69]
	v_mul_f64 v[84:85], v[102:103], s[34:35]
	v_add_f64 v[0:1], v[8:9], v[0:1]
	v_fma_f64 v[2:3], v[138:139], s[0:1], -v[82:83]
	s_mov_b32 s8, 0x2b2883cd
	s_mov_b32 s31, 0xbfeca52d
	v_add_f64 v[146:147], v[18:19], v[70:71]
	v_mul_f64 v[86:87], v[106:107], s[34:35]
	v_fma_f64 v[4:5], s[18:19], v[142:143], v[84:85]
	v_add_f64 v[110:111], v[22:23], -v[66:67]
	v_add_f64 v[2:3], v[10:11], v[2:3]
	s_mov_b32 s9, 0x3fdc86fa
	s_mov_b32 s40, 0xeb564b22
	v_add_f64 v[0:1], v[4:5], v[0:1]
	v_fma_f64 v[4:5], v[146:147], s[18:19], -v[86:87]
	v_add_f64 v[150:151], v[20:21], v[64:65]
	v_add_f64 v[108:109], v[20:21], -v[64:65]
	v_mul_f64 v[88:89], v[110:111], s[30:31]
	s_mov_b32 s16, 0x3259b75e
	s_mov_b32 s41, 0xbfefdd0d
	v_add_f64 v[2:3], v[4:5], v[2:3]
	v_add_f64 v[152:153], v[22:23], v[66:67]
	v_mul_f64 v[90:91], v[108:109], s[30:31]
	v_fma_f64 v[4:5], s[8:9], v[150:151], v[88:89]
	v_add_f64 v[216:217], v[26:27], -v[62:63]
	s_mov_b32 s17, 0x3fb79ee6
	v_add_f64 v[0:1], v[4:5], v[0:1]
	v_fma_f64 v[4:5], v[152:153], s[8:9], -v[90:91]
	s_mov_b32 s46, 0x923c349f
	v_add_f64 v[158:159], v[24:25], v[60:61]
	v_add_f64 v[218:219], v[24:25], -v[60:61]
	v_mul_f64 v[92:93], v[216:217], s[40:41]
	v_add_f64 v[2:3], v[4:5], v[2:3]
	s_mov_b32 s22, 0xc61f0d01
	s_mov_b32 s47, 0x3feec746
	v_add_f64 v[160:161], v[26:27], v[62:63]
	v_mul_f64 v[94:95], v[218:219], s[40:41]
	v_fma_f64 v[4:5], s[16:17], v[158:159], v[92:93]
	v_add_f64 v[226:227], v[30:31], -v[58:59]
	s_mov_b32 s43, 0xbfeec746
	s_mov_b32 s42, s46
	s_mov_b32 s36, 0x6c9a05f6
	s_mov_b32 s23, 0xbfd183b1
	v_add_f64 v[0:1], v[4:5], v[0:1]
	v_fma_f64 v[4:5], v[160:161], s[16:17], -v[94:95]
	v_add_f64 v[164:165], v[28:29], v[56:57]
	v_add_f64 v[220:221], v[28:29], -v[56:57]
	v_mul_f64 v[96:97], v[226:227], s[42:43]
	s_mov_b32 s20, 0x6ed5f1bb
	s_mov_b32 s37, 0xbfe9895b
	v_add_f64 v[2:3], v[4:5], v[2:3]
	v_add_f64 v[166:167], v[30:31], v[58:59]
	v_mul_f64 v[98:99], v[220:221], s[42:43]
	v_fma_f64 v[4:5], s[22:23], v[164:165], v[96:97]
	v_add_f64 v[238:239], v[34:35], -v[54:55]
	s_mov_b32 s21, 0xbfe348c8
	v_add_f64 v[0:1], v[4:5], v[0:1]
	v_fma_f64 v[4:5], v[166:167], s[22:23], -v[98:99]
	s_mov_b32 s44, 0x4363dd80
	v_add_f64 v[170:171], v[32:33], v[52:53]
	v_add_f64 v[232:233], v[32:33], -v[52:53]
	v_mul_f64 v[188:189], v[238:239], s[36:37]
	v_add_f64 v[2:3], v[4:5], v[2:3]
	s_mov_b32 s24, 0x910ea3b9
	s_mov_b32 s45, 0x3fe0d888
	v_add_f64 v[172:173], v[34:35], v[54:55]
	v_mul_f64 v[192:193], v[232:233], s[36:37]
	v_fma_f64 v[4:5], s[20:21], v[170:171], v[188:189]
	s_mov_b32 s49, 0xbfe0d888
	s_mov_b32 s48, s44
	v_add_f64 v[254:255], v[38:39], -v[50:51]
	s_mov_b32 s25, 0xbfeb34fa
	v_add_f64 v[0:1], v[4:5], v[0:1]
	v_fma_f64 v[4:5], v[172:173], s[20:21], -v[192:193]
	v_add_f64 v[178:179], v[36:37], v[48:49]
	v_add_f64 v[246:247], v[36:37], -v[48:49]
	v_mul_f64 v[208:209], v[254:255], s[48:49]
	s_mov_b32 s38, 0xacd6c6b4
	v_add_f64 v[2:3], v[4:5], v[2:3]
	v_add_f64 v[176:177], v[38:39], v[50:51]
	v_mul_f64 v[6:7], v[246:247], s[48:49]
	v_fma_f64 v[4:5], s[24:25], v[178:179], v[208:209]
	s_mov_b32 s39, 0xbfc7851a
	v_add_f64 v[0:1], v[4:5], v[0:1]
	v_fma_f64 v[4:5], v[176:177], s[24:25], -v[6:7]
	v_add_f64 v[124:125], v[42:43], -v[46:47]
	s_mov_b32 s10, 0x7faef3
	v_add_f64 v[2:3], v[4:5], v[2:3]
	v_mul_f64 v[4:5], v[124:125], s[38:39]
	s_mov_b32 s11, 0xbfef7484
	v_add_f64 v[190:191], v[40:41], v[44:45]
	v_accvgpr_write_b32 a17, v5
	v_accvgpr_write_b32 a16, v4
	v_fma_f64 v[4:5], s[10:11], v[190:191], v[4:5]
	v_add_f64 v[122:123], v[40:41], -v[44:45]
	v_add_f64 v[204:205], v[4:5], v[0:1]
	v_mul_f64 v[0:1], v[122:123], s[38:39]
	v_add_f64 v[196:197], v[42:43], v[46:47]
	v_accvgpr_write_b32 a19, v1
	v_accvgpr_write_b32 a18, v0
	v_fma_f64 v[0:1], v[196:197], s[10:11], -v[0:1]
	v_add_f64 v[206:207], v[0:1], v[2:3]
	v_mul_f64 v[0:1], v[100:101], s[34:35]
	v_accvgpr_write_b32 a21, v1
	v_mul_f64 v[2:3], v[102:103], s[40:41]
	v_accvgpr_write_b32 a20, v0
	v_fma_f64 v[0:1], s[18:19], v[134:135], v[0:1]
	v_accvgpr_write_b32 a23, v3
	v_add_f64 v[0:1], v[8:9], v[0:1]
	v_accvgpr_write_b32 a22, v2
	v_fma_f64 v[2:3], s[16:17], v[142:143], v[2:3]
	v_add_f64 v[0:1], v[2:3], v[0:1]
	v_mul_f64 v[2:3], v[104:105], s[34:35]
	v_accvgpr_write_b32 a29, v3
	v_mul_f64 v[4:5], v[106:107], s[40:41]
	v_accvgpr_write_b32 a28, v2
	v_fma_f64 v[2:3], v[138:139], s[18:19], -v[2:3]
	v_accvgpr_write_b32 a31, v5
	v_add_f64 v[2:3], v[10:11], v[2:3]
	v_accvgpr_write_b32 a30, v4
	v_fma_f64 v[4:5], v[146:147], s[16:17], -v[4:5]
	v_add_f64 v[2:3], v[4:5], v[2:3]
	v_mul_f64 v[4:5], v[110:111], s[36:37]
	v_accvgpr_write_b32 a25, v5
	v_accvgpr_write_b32 a24, v4
	v_fma_f64 v[4:5], s[20:21], v[150:151], v[4:5]
	v_add_f64 v[0:1], v[4:5], v[0:1]
	v_mul_f64 v[4:5], v[108:109], s[36:37]
	v_accvgpr_write_b32 a35, v5
	v_accvgpr_write_b32 a34, v4
	v_fma_f64 v[4:5], v[152:153], s[20:21], -v[4:5]
	v_add_f64 v[2:3], v[4:5], v[2:3]
	v_mul_f64 v[4:5], v[216:217], s[38:39]
	v_accvgpr_write_b32 a27, v5
	v_accvgpr_write_b32 a26, v4
	v_fma_f64 v[4:5], s[10:11], v[158:159], v[4:5]
	v_add_f64 v[0:1], v[4:5], v[0:1]
	v_mul_f64 v[4:5], v[218:219], s[38:39]
	v_accvgpr_write_b32 a41, v5
	;; [unrolled: 10-line block ×3, first 2 shown]
	v_accvgpr_write_b32 a44, v4
	v_fma_f64 v[4:5], v[166:167], s[24:25], -v[4:5]
	v_add_f64 v[2:3], v[4:5], v[2:3]
	v_mul_f64 v[4:5], v[238:239], s[46:47]
	v_accvgpr_write_b32 a37, v5
	v_accvgpr_write_b32 a36, v4
	v_fma_f64 v[4:5], s[22:23], v[170:171], v[4:5]
	v_mul_f64 v[210:211], v[232:233], s[46:47]
	v_add_f64 v[0:1], v[4:5], v[0:1]
	v_fma_f64 v[4:5], v[172:173], s[22:23], -v[210:211]
	s_mov_b32 s55, 0x3feca52d
	s_mov_b32 s54, s30
	v_add_f64 v[2:3], v[4:5], v[2:3]
	v_mul_f64 v[4:5], v[254:255], s[54:55]
	v_accvgpr_write_b32 a39, v5
	v_accvgpr_write_b32 a38, v4
	v_fma_f64 v[4:5], s[8:9], v[178:179], v[4:5]
	v_mul_f64 v[212:213], v[246:247], s[54:55]
	v_add_f64 v[0:1], v[4:5], v[0:1]
	v_fma_f64 v[4:5], v[176:177], s[8:9], -v[212:213]
	s_mov_b32 s53, 0x3fd71e95
	s_mov_b32 s52, s26
	v_add_f64 v[2:3], v[4:5], v[2:3]
	v_mul_f64 v[4:5], v[124:125], s[52:53]
	v_accvgpr_write_b32 a43, v5
	v_accvgpr_write_b32 a42, v4
	v_fma_f64 v[4:5], s[0:1], v[190:191], v[4:5]
	v_mul_f64 v[214:215], v[122:123], s[52:53]
	v_accvgpr_write_b32 a15, v7
	v_add_f64 v[4:5], v[4:5], v[0:1]
	v_fma_f64 v[0:1], v[196:197], s[0:1], -v[214:215]
	v_mul_f64 v[222:223], v[100:101], s[30:31]
	v_accvgpr_write_b32 a14, v6
	v_add_f64 v[6:7], v[0:1], v[2:3]
	v_fma_f64 v[0:1], s[8:9], v[134:135], v[222:223]
	v_mul_f64 v[224:225], v[102:103], s[36:37]
	v_add_f64 v[0:1], v[8:9], v[0:1]
	v_fma_f64 v[2:3], s[20:21], v[142:143], v[224:225]
	v_mul_f64 v[240:241], v[104:105], s[30:31]
	v_accvgpr_write_b32 a13, v7
	v_add_f64 v[0:1], v[2:3], v[0:1]
	v_fma_f64 v[2:3], v[138:139], s[8:9], -v[240:241]
	v_mul_f64 v[244:245], v[106:107], s[36:37]
	s_mov_b32 s57, 0x3fc7851a
	s_mov_b32 s56, s38
	v_accvgpr_write_b32 a12, v6
	v_accvgpr_write_b32 a11, v5
	;; [unrolled: 1-line block ×3, first 2 shown]
	v_add_f64 v[2:3], v[10:11], v[2:3]
	v_fma_f64 v[4:5], v[146:147], s[20:21], -v[244:245]
	v_mul_f64 v[228:229], v[110:111], s[56:57]
	v_add_f64 v[2:3], v[4:5], v[2:3]
	v_fma_f64 v[4:5], s[10:11], v[150:151], v[228:229]
	v_mul_f64 v[250:251], v[108:109], s[56:57]
	v_add_f64 v[0:1], v[4:5], v[0:1]
	v_fma_f64 v[4:5], v[152:153], s[10:11], -v[250:251]
	v_mul_f64 v[230:231], v[216:217], s[46:47]
	v_add_f64 v[2:3], v[4:5], v[2:3]
	v_fma_f64 v[4:5], s[22:23], v[158:159], v[230:231]
	v_mul_f64 v[252:253], v[218:219], s[46:47]
	s_mov_b32 s51, 0x3fe58eea
	s_mov_b32 s50, s34
	v_add_f64 v[0:1], v[4:5], v[0:1]
	v_fma_f64 v[4:5], v[160:161], s[22:23], -v[252:253]
	v_mul_f64 v[234:235], v[226:227], s[50:51]
	v_add_f64 v[2:3], v[4:5], v[2:3]
	v_fma_f64 v[4:5], s[18:19], v[164:165], v[234:235]
	v_mul_f64 v[112:113], v[220:221], s[50:51]
	v_add_f64 v[0:1], v[4:5], v[0:1]
	v_fma_f64 v[4:5], v[166:167], s[18:19], -v[112:113]
	v_mul_f64 v[236:237], v[238:239], s[26:27]
	v_add_f64 v[2:3], v[4:5], v[2:3]
	v_fma_f64 v[4:5], s[0:1], v[170:171], v[236:237]
	v_mul_f64 v[114:115], v[232:233], s[26:27]
	v_add_f64 v[0:1], v[4:5], v[0:1]
	v_fma_f64 v[4:5], v[172:173], s[0:1], -v[114:115]
	v_mul_f64 v[242:243], v[254:255], s[40:41]
	v_add_f64 v[2:3], v[4:5], v[2:3]
	v_fma_f64 v[4:5], s[16:17], v[178:179], v[242:243]
	v_mul_f64 v[120:121], v[246:247], s[40:41]
	v_add_f64 v[0:1], v[4:5], v[0:1]
	v_fma_f64 v[4:5], v[176:177], s[16:17], -v[120:121]
	v_mul_f64 v[248:249], v[124:125], s[48:49]
	v_add_f64 v[2:3], v[4:5], v[2:3]
	v_fma_f64 v[4:5], s[24:25], v[190:191], v[248:249]
	v_mul_f64 v[130:131], v[122:123], s[48:49]
	v_add_f64 v[116:117], v[4:5], v[0:1]
	v_fma_f64 v[0:1], v[196:197], s[24:25], -v[130:131]
	v_mul_f64 v[132:133], v[100:101], s[40:41]
	v_add_f64 v[118:119], v[0:1], v[2:3]
	v_fma_f64 v[0:1], s[16:17], v[134:135], v[132:133]
	v_mul_f64 v[136:137], v[102:103], s[38:39]
	v_add_f64 v[0:1], v[8:9], v[0:1]
	v_fma_f64 v[2:3], s[10:11], v[142:143], v[136:137]
	v_mul_f64 v[148:149], v[104:105], s[40:41]
	v_add_f64 v[0:1], v[2:3], v[0:1]
	v_fma_f64 v[2:3], v[138:139], s[16:17], -v[148:149]
	v_mul_f64 v[156:157], v[106:107], s[38:39]
	v_add_f64 v[2:3], v[10:11], v[2:3]
	v_fma_f64 v[4:5], v[146:147], s[10:11], -v[156:157]
	v_mul_f64 v[140:141], v[110:111], s[46:47]
	v_add_f64 v[2:3], v[4:5], v[2:3]
	v_fma_f64 v[4:5], s[22:23], v[150:151], v[140:141]
	v_mul_f64 v[76:77], v[108:109], s[46:47]
	v_add_f64 v[0:1], v[4:5], v[0:1]
	v_fma_f64 v[4:5], v[152:153], s[22:23], -v[76:77]
	v_mul_f64 v[144:145], v[216:217], s[52:53]
	v_add_f64 v[2:3], v[4:5], v[2:3]
	v_fma_f64 v[4:5], s[0:1], v[158:159], v[144:145]
	;; [unrolled: 6-line block ×4, first 2 shown]
	v_mul_f64 v[182:183], v[232:233], s[48:49]
	s_mov_b32 s59, 0x3fe9895b
	s_mov_b32 s58, s36
	v_add_f64 v[0:1], v[4:5], v[0:1]
	v_fma_f64 v[4:5], v[172:173], s[24:25], -v[182:183]
	v_mul_f64 v[78:79], v[254:255], s[58:59]
	v_add_f64 v[2:3], v[4:5], v[2:3]
	v_fma_f64 v[4:5], s[20:21], v[178:179], v[78:79]
	v_mul_f64 v[184:185], v[246:247], s[58:59]
	v_add_f64 v[0:1], v[4:5], v[0:1]
	v_fma_f64 v[4:5], v[176:177], s[20:21], -v[184:185]
	v_mul_f64 v[174:175], v[124:125], s[50:51]
	v_add_f64 v[2:3], v[4:5], v[2:3]
	v_fma_f64 v[4:5], s[18:19], v[190:191], v[174:175]
	v_mul_f64 v[186:187], v[122:123], s[50:51]
	v_add_f64 v[126:127], v[4:5], v[0:1]
	v_fma_f64 v[0:1], v[196:197], s[18:19], -v[186:187]
	v_add_f64 v[128:129], v[0:1], v[2:3]
	s_barrier
	s_and_saveexec_b64 s[28:29], s[4:5]
	s_cbranch_execz .LBB0_7
; %bb.6:
	v_mul_f64 v[0:1], v[138:139], s[10:11]
	v_fma_f64 v[2:3], s[56:57], v[104:105], v[0:1]
	v_mul_f64 v[4:5], v[146:147], s[0:1]
	v_add_f64 v[2:3], v[10:11], v[2:3]
	v_fma_f64 v[6:7], s[26:27], v[106:107], v[4:5]
	v_add_f64 v[2:3], v[6:7], v[2:3]
	v_mul_f64 v[6:7], v[152:153], s[24:25]
	v_accvgpr_write_b32 a50, v80
	v_accvgpr_write_b32 a51, v81
	v_fma_f64 v[80:81], s[44:45], v[108:109], v[6:7]
	v_add_f64 v[2:3], v[80:81], v[2:3]
	v_mul_f64 v[80:81], v[160:161], s[18:19]
	v_accvgpr_write_b32 a56, v82
	v_accvgpr_write_b32 a57, v83
	;; [unrolled: 5-line block ×6, first 2 shown]
	v_accvgpr_write_b32 a67, v91
	v_fma_f64 v[90:91], s[10:11], v[134:135], v[88:89]
	v_accvgpr_write_b32 a61, v93
	v_mul_f64 v[92:93], v[102:103], s[52:53]
	v_accvgpr_write_b32 a68, v94
	v_add_f64 v[90:91], v[8:9], v[90:91]
	v_accvgpr_write_b32 a69, v95
	v_fma_f64 v[94:95], s[0:1], v[142:143], v[92:93]
	v_add_f64 v[90:91], v[94:95], v[90:91]
	v_mul_f64 v[94:95], v[110:111], s[48:49]
	v_accvgpr_write_b32 a62, v96
	v_accvgpr_write_b32 a63, v97
	v_fma_f64 v[96:97], s[24:25], v[150:151], v[94:95]
	v_add_f64 v[90:91], v[96:97], v[90:91]
	v_mul_f64 v[96:97], v[216:217], s[50:51]
	v_accvgpr_write_b32 a70, v98
	;; [unrolled: 5-line block ×4, first 2 shown]
	v_fmac_f64_e32 v[0:1], s[38:39], v[104:105]
	v_accvgpr_write_b32 a73, v193
	v_fma_f64 v[192:193], s[8:9], v[170:171], v[188:189]
	v_fmac_f64_e32 v[4:5], s[52:53], v[106:107]
	v_add_f64 v[0:1], v[10:11], v[0:1]
	v_add_f64 v[90:91], v[192:193], v[90:91]
	v_mul_f64 v[192:193], v[254:255], s[42:43]
	v_add_f64 v[0:1], v[4:5], v[0:1]
	v_fmac_f64_e32 v[6:7], s[48:49], v[108:109]
	v_accvgpr_write_b32 a0, v194
	v_fma_f64 v[194:195], s[22:23], v[178:179], v[192:193]
	v_add_f64 v[0:1], v[6:7], v[0:1]
	v_fma_f64 v[6:7], v[134:135], s[10:11], -v[88:89]
	v_add_f64 v[90:91], v[194:195], v[90:91]
	v_mul_f64 v[194:195], v[196:197], s[16:17]
	v_accvgpr_write_b32 a2, v198
	v_fma_f64 v[4:5], v[142:143], s[0:1], -v[92:93]
	v_add_f64 v[6:7], v[8:9], v[6:7]
	v_accvgpr_write_b32 a3, v199
	v_fma_f64 v[198:199], s[40:41], v[122:123], v[194:195]
	v_accvgpr_write_b32 a76, v212
	s_mov_b32 s61, 0x3fefdd0d
	s_mov_b32 s60, s40
	v_fmac_f64_e32 v[80:81], s[50:51], v[218:219]
	v_add_f64 v[4:5], v[4:5], v[6:7]
	v_fma_f64 v[6:7], v[150:151], s[24:25], -v[94:95]
	v_accvgpr_write_b32 a77, v213
	v_add_f64 v[212:213], v[198:199], v[2:3]
	v_mul_f64 v[2:3], v[124:125], s[60:61]
	v_add_f64 v[0:1], v[80:81], v[0:1]
	v_fmac_f64_e32 v[82:83], s[36:37], v[220:221]
	v_add_f64 v[4:5], v[6:7], v[4:5]
	v_fma_f64 v[6:7], v[158:159], s[18:19], -v[96:97]
	v_fma_f64 v[198:199], s[16:17], v[190:191], v[2:3]
	v_accvgpr_write_b32 a74, v210
	v_add_f64 v[0:1], v[82:83], v[0:1]
	v_fmac_f64_e32 v[84:85], s[54:55], v[232:233]
	v_add_f64 v[4:5], v[6:7], v[4:5]
	v_fma_f64 v[6:7], v[164:165], s[20:21], -v[98:99]
	v_accvgpr_write_b32 a75, v211
	v_add_f64 v[210:211], v[198:199], v[90:91]
	v_add_f64 v[0:1], v[84:85], v[0:1]
	v_fmac_f64_e32 v[86:87], s[42:43], v[246:247]
	v_add_f64 v[4:5], v[6:7], v[4:5]
	v_fma_f64 v[6:7], v[170:171], s[8:9], -v[188:189]
	v_accvgpr_write_b32 a46, v210
	v_add_f64 v[0:1], v[86:87], v[0:1]
	v_add_f64 v[4:5], v[6:7], v[4:5]
	v_fma_f64 v[6:7], v[178:179], s[22:23], -v[192:193]
	v_fmac_f64_e32 v[194:195], s[60:61], v[122:123]
	v_accvgpr_write_b32 a47, v211
	v_accvgpr_write_b32 a48, v212
	;; [unrolled: 1-line block ×3, first 2 shown]
	v_add_f64 v[4:5], v[6:7], v[4:5]
	v_add_f64 v[212:213], v[194:195], v[0:1]
	v_fma_f64 v[0:1], v[190:191], s[16:17], -v[2:3]
	v_add_f64 v[210:211], v[0:1], v[4:5]
	v_mul_f64 v[0:1], v[138:139], s[24:25]
	v_fma_f64 v[2:3], s[44:45], v[104:105], v[0:1]
	v_mul_f64 v[4:5], v[146:147], s[8:9]
	v_add_f64 v[2:3], v[10:11], v[2:3]
	v_fma_f64 v[6:7], s[30:31], v[106:107], v[4:5]
	v_add_f64 v[2:3], v[6:7], v[2:3]
	v_mul_f64 v[6:7], v[152:153], s[16:17]
	v_fma_f64 v[84:85], s[60:61], v[108:109], v[6:7]
	v_mul_f64 v[88:89], v[160:161], s[20:21]
	v_add_f64 v[2:3], v[84:85], v[2:3]
	v_fma_f64 v[84:85], s[36:37], v[218:219], v[88:89]
	v_mul_f64 v[90:91], v[166:167], s[0:1]
	v_add_f64 v[2:3], v[84:85], v[2:3]
	;; [unrolled: 3-line block ×4, first 2 shown]
	v_fma_f64 v[84:85], s[34:35], v[246:247], v[94:95]
	v_mul_f64 v[96:97], v[100:101], s[48:49]
	v_fmac_f64_e32 v[0:1], s[48:49], v[104:105]
	v_add_f64 v[2:3], v[84:85], v[2:3]
	v_fma_f64 v[84:85], s[24:25], v[134:135], v[96:97]
	v_mul_f64 v[98:99], v[102:103], s[54:55]
	v_fmac_f64_e32 v[4:5], s[54:55], v[106:107]
	v_add_f64 v[0:1], v[10:11], v[0:1]
	v_add_f64 v[84:85], v[8:9], v[84:85]
	v_fma_f64 v[86:87], s[8:9], v[142:143], v[98:99]
	v_mul_f64 v[188:189], v[110:111], s[40:41]
	v_add_f64 v[0:1], v[4:5], v[0:1]
	v_fmac_f64_e32 v[6:7], s[40:41], v[108:109]
	v_add_f64 v[84:85], v[86:87], v[84:85]
	v_fma_f64 v[86:87], s[16:17], v[150:151], v[188:189]
	v_mul_f64 v[192:193], v[216:217], s[58:59]
	v_add_f64 v[0:1], v[6:7], v[0:1]
	v_fma_f64 v[6:7], v[134:135], s[24:25], -v[96:97]
	v_add_f64 v[84:85], v[86:87], v[84:85]
	v_fma_f64 v[86:87], s[20:21], v[158:159], v[192:193]
	v_mul_f64 v[194:195], v[226:227], s[26:27]
	v_fma_f64 v[4:5], v[142:143], s[8:9], -v[98:99]
	v_add_f64 v[6:7], v[8:9], v[6:7]
	v_add_f64 v[84:85], v[86:87], v[84:85]
	v_fma_f64 v[86:87], s[0:1], v[164:165], v[194:195]
	v_mul_f64 v[198:199], v[238:239], s[38:39]
	v_fmac_f64_e32 v[88:89], s[58:59], v[218:219]
	v_add_f64 v[4:5], v[4:5], v[6:7]
	v_fma_f64 v[6:7], v[150:151], s[16:17], -v[188:189]
	v_add_f64 v[84:85], v[86:87], v[84:85]
	v_fma_f64 v[86:87], s[10:11], v[170:171], v[198:199]
	v_accvgpr_write_b32 a4, v200
	v_accvgpr_write_b32 a1, v201
	v_mul_f64 v[200:201], v[254:255], s[50:51]
	v_add_f64 v[0:1], v[88:89], v[0:1]
	v_fmac_f64_e32 v[90:91], s[26:27], v[220:221]
	v_add_f64 v[4:5], v[6:7], v[4:5]
	v_fma_f64 v[6:7], v[158:159], s[20:21], -v[192:193]
	v_add_f64 v[84:85], v[86:87], v[84:85]
	v_fma_f64 v[86:87], s[18:19], v[178:179], v[200:201]
	v_accvgpr_write_b32 a5, v202
	v_mul_f64 v[202:203], v[196:197], s[22:23]
	v_add_f64 v[0:1], v[90:91], v[0:1]
	v_fmac_f64_e32 v[92:93], s[38:39], v[232:233]
	v_add_f64 v[4:5], v[6:7], v[4:5]
	v_fma_f64 v[6:7], v[164:165], s[0:1], -v[194:195]
	v_add_f64 v[84:85], v[86:87], v[84:85]
	v_fma_f64 v[86:87], s[46:47], v[122:123], v[202:203]
	v_add_f64 v[0:1], v[92:93], v[0:1]
	v_fmac_f64_e32 v[94:95], s[50:51], v[246:247]
	v_add_f64 v[4:5], v[6:7], v[4:5]
	v_fma_f64 v[6:7], v[170:171], s[10:11], -v[198:199]
	v_add_f64 v[86:87], v[86:87], v[2:3]
	v_mul_f64 v[2:3], v[124:125], s[42:43]
	v_add_f64 v[0:1], v[94:95], v[0:1]
	v_add_f64 v[4:5], v[6:7], v[4:5]
	v_fma_f64 v[6:7], v[178:179], s[18:19], -v[200:201]
	v_fmac_f64_e32 v[202:203], s[42:43], v[122:123]
	v_add_f64 v[4:5], v[6:7], v[4:5]
	v_add_f64 v[90:91], v[202:203], v[0:1]
	v_fma_f64 v[0:1], v[190:191], s[22:23], -v[2:3]
	v_add_f64 v[88:89], v[0:1], v[4:5]
	v_mul_f64 v[0:1], v[138:139], s[20:21]
	v_fma_f64 v[80:81], s[22:23], v[190:191], v[2:3]
	v_fma_f64 v[2:3], s[58:59], v[104:105], v[0:1]
	v_mul_f64 v[4:5], v[146:147], s[22:23]
	v_add_f64 v[2:3], v[10:11], v[2:3]
	v_fma_f64 v[6:7], s[42:43], v[106:107], v[4:5]
	v_add_f64 v[2:3], v[6:7], v[2:3]
	v_mul_f64 v[6:7], v[152:153], s[0:1]
	v_add_f64 v[84:85], v[80:81], v[84:85]
	v_fma_f64 v[80:81], s[52:53], v[108:109], v[6:7]
	v_add_f64 v[2:3], v[80:81], v[2:3]
	v_mul_f64 v[80:81], v[160:161], s[24:25]
	v_fma_f64 v[82:83], s[44:45], v[218:219], v[80:81]
	v_add_f64 v[2:3], v[82:83], v[2:3]
	v_mul_f64 v[82:83], v[166:167], s[16:17]
	v_fma_f64 v[92:93], s[40:41], v[220:221], v[82:83]
	v_mul_f64 v[96:97], v[172:173], s[18:19]
	v_add_f64 v[2:3], v[92:93], v[2:3]
	v_fma_f64 v[92:93], s[50:51], v[232:233], v[96:97]
	v_mul_f64 v[98:99], v[176:177], s[10:11]
	v_add_f64 v[2:3], v[92:93], v[2:3]
	v_fma_f64 v[92:93], s[56:57], v[246:247], v[98:99]
	v_mul_f64 v[188:189], v[100:101], s[36:37]
	v_fmac_f64_e32 v[0:1], s[36:37], v[104:105]
	v_add_f64 v[2:3], v[92:93], v[2:3]
	v_fma_f64 v[92:93], s[20:21], v[134:135], v[188:189]
	v_mul_f64 v[192:193], v[102:103], s[46:47]
	v_fmac_f64_e32 v[4:5], s[46:47], v[106:107]
	v_add_f64 v[0:1], v[10:11], v[0:1]
	v_add_f64 v[92:93], v[8:9], v[92:93]
	v_fma_f64 v[94:95], s[22:23], v[142:143], v[192:193]
	v_mul_f64 v[194:195], v[110:111], s[26:27]
	v_add_f64 v[0:1], v[4:5], v[0:1]
	v_fmac_f64_e32 v[6:7], s[26:27], v[108:109]
	v_add_f64 v[92:93], v[94:95], v[92:93]
	v_fma_f64 v[94:95], s[0:1], v[150:151], v[194:195]
	v_mul_f64 v[198:199], v[216:217], s[48:49]
	v_add_f64 v[0:1], v[6:7], v[0:1]
	v_fma_f64 v[6:7], v[134:135], s[20:21], -v[188:189]
	v_add_f64 v[92:93], v[94:95], v[92:93]
	v_fma_f64 v[94:95], s[24:25], v[158:159], v[198:199]
	v_mul_f64 v[200:201], v[226:227], s[60:61]
	v_fma_f64 v[4:5], v[142:143], s[22:23], -v[192:193]
	v_add_f64 v[6:7], v[8:9], v[6:7]
	v_add_f64 v[92:93], v[94:95], v[92:93]
	v_fma_f64 v[94:95], s[16:17], v[164:165], v[200:201]
	v_mul_f64 v[202:203], v[238:239], s[34:35]
	v_accvgpr_write_b32 a6, v204
	v_fmac_f64_e32 v[80:81], s[48:49], v[218:219]
	v_add_f64 v[4:5], v[4:5], v[6:7]
	v_fma_f64 v[6:7], v[150:151], s[0:1], -v[194:195]
	v_add_f64 v[92:93], v[94:95], v[92:93]
	v_fma_f64 v[94:95], s[18:19], v[170:171], v[202:203]
	v_accvgpr_write_b32 a7, v205
	v_accvgpr_write_b32 a8, v206
	;; [unrolled: 1-line block ×3, first 2 shown]
	v_mul_f64 v[204:205], v[254:255], s[38:39]
	v_add_f64 v[0:1], v[80:81], v[0:1]
	v_fmac_f64_e32 v[82:83], s[60:61], v[220:221]
	v_add_f64 v[4:5], v[6:7], v[4:5]
	v_fma_f64 v[6:7], v[158:159], s[24:25], -v[198:199]
	v_add_f64 v[92:93], v[94:95], v[92:93]
	v_fma_f64 v[94:95], s[10:11], v[178:179], v[204:205]
	v_mul_f64 v[206:207], v[196:197], s[8:9]
	v_add_f64 v[0:1], v[82:83], v[0:1]
	v_fmac_f64_e32 v[96:97], s[34:35], v[232:233]
	v_add_f64 v[4:5], v[6:7], v[4:5]
	v_fma_f64 v[6:7], v[164:165], s[16:17], -v[200:201]
	v_add_f64 v[92:93], v[94:95], v[92:93]
	v_fma_f64 v[94:95], s[30:31], v[122:123], v[206:207]
	v_add_f64 v[0:1], v[96:97], v[0:1]
	v_fmac_f64_e32 v[98:99], s[38:39], v[246:247]
	v_add_f64 v[4:5], v[6:7], v[4:5]
	v_fma_f64 v[6:7], v[170:171], s[18:19], -v[202:203]
	v_add_f64 v[94:95], v[94:95], v[2:3]
	v_mul_f64 v[2:3], v[124:125], s[54:55]
	v_add_f64 v[0:1], v[98:99], v[0:1]
	v_add_f64 v[4:5], v[6:7], v[4:5]
	v_fma_f64 v[6:7], v[178:179], s[10:11], -v[204:205]
	v_fmac_f64_e32 v[206:207], s[54:55], v[122:123]
	v_add_f64 v[4:5], v[6:7], v[4:5]
	v_add_f64 v[98:99], v[206:207], v[0:1]
	v_fma_f64 v[0:1], v[190:191], s[8:9], -v[2:3]
	v_accvgpr_write_b32 a78, v208
	v_add_f64 v[96:97], v[0:1], v[4:5]
	v_mul_f64 v[0:1], v[138:139], s[22:23]
	v_accvgpr_write_b32 a79, v209
	v_fma_f64 v[208:209], s[8:9], v[190:191], v[2:3]
	v_fma_f64 v[2:3], s[46:47], v[104:105], v[0:1]
	v_mul_f64 v[4:5], v[146:147], s[24:25]
	v_add_f64 v[2:3], v[10:11], v[2:3]
	v_fma_f64 v[6:7], s[48:49], v[106:107], v[4:5]
	v_add_f64 v[2:3], v[6:7], v[2:3]
	v_mul_f64 v[6:7], v[152:153], s[18:19]
	v_fma_f64 v[80:81], s[34:35], v[108:109], v[6:7]
	v_add_f64 v[2:3], v[80:81], v[2:3]
	v_mul_f64 v[80:81], v[160:161], s[8:9]
	;; [unrolled: 3-line block ×5, first 2 shown]
	v_fma_f64 v[194:195], s[52:53], v[246:247], v[192:193]
	v_mul_f64 v[198:199], v[100:101], s[42:43]
	v_fmac_f64_e32 v[0:1], s[42:43], v[104:105]
	v_add_f64 v[2:3], v[194:195], v[2:3]
	v_mul_f64 v[194:195], v[102:103], s[44:45]
	v_fma_f64 v[100:101], s[22:23], v[134:135], v[198:199]
	v_fmac_f64_e32 v[4:5], s[44:45], v[106:107]
	v_add_f64 v[0:1], v[10:11], v[0:1]
	v_add_f64 v[100:101], v[8:9], v[100:101]
	v_fma_f64 v[102:103], s[24:25], v[142:143], v[194:195]
	v_mul_f64 v[110:111], v[110:111], s[50:51]
	v_fmac_f64_e32 v[6:7], s[50:51], v[108:109]
	v_add_f64 v[0:1], v[4:5], v[0:1]
	v_add_f64 v[100:101], v[102:103], v[100:101]
	v_fma_f64 v[102:103], s[18:19], v[150:151], v[110:111]
	v_mul_f64 v[200:201], v[216:217], s[30:31]
	v_add_f64 v[0:1], v[6:7], v[0:1]
	v_fma_f64 v[6:7], v[134:135], s[22:23], -v[198:199]
	v_add_f64 v[100:101], v[102:103], v[100:101]
	v_fma_f64 v[102:103], s[8:9], v[158:159], v[200:201]
	v_mul_f64 v[202:203], v[226:227], s[38:39]
	v_fmac_f64_e32 v[80:81], s[30:31], v[218:219]
	v_fma_f64 v[4:5], v[142:143], s[24:25], -v[194:195]
	v_add_f64 v[6:7], v[8:9], v[6:7]
	v_add_f64 v[100:101], v[102:103], v[100:101]
	v_fma_f64 v[102:103], s[10:11], v[164:165], v[202:203]
	v_mul_f64 v[204:205], v[238:239], s[60:61]
	v_fmac_f64_e32 v[82:83], s[38:39], v[220:221]
	v_add_f64 v[0:1], v[80:81], v[0:1]
	v_add_f64 v[4:5], v[4:5], v[6:7]
	v_fma_f64 v[6:7], v[150:151], s[18:19], -v[110:111]
	v_add_f64 v[100:101], v[102:103], v[100:101]
	v_fma_f64 v[102:103], s[16:17], v[170:171], v[204:205]
	v_mul_f64 v[206:207], v[254:255], s[26:27]
	v_add_f64 v[0:1], v[82:83], v[0:1]
	v_add_f64 v[4:5], v[6:7], v[4:5]
	v_fma_f64 v[6:7], v[158:159], s[8:9], -v[200:201]
	v_mul_f64 v[82:83], v[152:153], s[22:23]
	v_mul_f64 v[108:109], v[138:139], s[16:17]
	v_add_f64 v[92:93], v[208:209], v[92:93]
	v_add_f64 v[100:101], v[102:103], v[100:101]
	v_fma_f64 v[102:103], s[0:1], v[178:179], v[206:207]
	v_mul_f64 v[208:209], v[196:197], s[20:21]
	v_fmac_f64_e32 v[188:189], s[60:61], v[232:233]
	v_add_f64 v[4:5], v[6:7], v[4:5]
	v_fma_f64 v[6:7], v[164:165], s[10:11], -v[202:203]
	v_add_f64 v[76:77], v[76:77], v[82:83]
	v_mul_f64 v[82:83], v[146:147], s[10:11]
	v_add_f64 v[108:109], v[148:149], v[108:109]
	v_add_f64 v[100:101], v[102:103], v[100:101]
	v_fma_f64 v[102:103], s[58:59], v[122:123], v[208:209]
	v_fmac_f64_e32 v[192:193], s[26:27], v[246:247]
	v_add_f64 v[0:1], v[188:189], v[0:1]
	v_add_f64 v[4:5], v[6:7], v[4:5]
	v_fma_f64 v[6:7], v[170:171], s[16:17], -v[204:205]
	v_add_f64 v[82:83], v[156:157], v[82:83]
	v_add_f64 v[108:109], v[10:11], v[108:109]
	;; [unrolled: 1-line block ×3, first 2 shown]
	v_mul_f64 v[2:3], v[124:125], s[36:37]
	v_fmac_f64_e32 v[208:209], s[36:37], v[122:123]
	v_add_f64 v[0:1], v[192:193], v[0:1]
	v_add_f64 v[4:5], v[6:7], v[4:5]
	v_fma_f64 v[6:7], v[178:179], s[0:1], -v[206:207]
	v_mul_f64 v[80:81], v[160:161], s[0:1]
	v_add_f64 v[82:83], v[82:83], v[108:109]
	v_add_f64 v[4:5], v[6:7], v[4:5]
	;; [unrolled: 1-line block ×3, first 2 shown]
	v_fma_f64 v[0:1], v[190:191], s[20:21], -v[2:3]
	v_mul_f64 v[6:7], v[166:167], s[8:9]
	v_add_f64 v[80:81], v[168:169], v[80:81]
	v_add_f64 v[76:77], v[76:77], v[82:83]
	v_mul_f64 v[110:111], v[134:135], s[16:17]
	v_add_f64 v[104:105], v[0:1], v[4:5]
	v_mul_f64 v[4:5], v[172:173], s[24:25]
	v_add_f64 v[6:7], v[180:181], v[6:7]
	v_add_f64 v[76:77], v[80:81], v[76:77]
	v_mul_f64 v[108:109], v[142:143], s[10:11]
	v_add_f64 v[110:111], v[110:111], -v[132:133]
	v_add_f64 v[4:5], v[182:183], v[4:5]
	v_add_f64 v[6:7], v[6:7], v[76:77]
	v_mul_f64 v[82:83], v[150:151], s[22:23]
	v_add_f64 v[108:109], v[108:109], -v[136:137]
	v_add_f64 v[110:111], v[8:9], v[110:111]
	v_add_f64 v[4:5], v[4:5], v[6:7]
	v_mul_f64 v[6:7], v[178:179], s[20:21]
	v_mul_f64 v[80:81], v[158:159], s[0:1]
	v_add_f64 v[82:83], v[82:83], -v[140:141]
	v_add_f64 v[108:109], v[108:109], v[110:111]
	v_add_f64 v[6:7], v[6:7], -v[78:79]
	v_mul_f64 v[78:79], v[164:165], s[8:9]
	v_add_f64 v[80:81], v[80:81], -v[144:145]
	v_add_f64 v[82:83], v[82:83], v[108:109]
	v_fma_f64 v[124:125], s[20:21], v[190:191], v[2:3]
	v_mul_f64 v[2:3], v[176:177], s[20:21]
	v_mul_f64 v[76:77], v[170:171], s[24:25]
	v_add_f64 v[78:79], v[78:79], -v[154:155]
	v_add_f64 v[80:81], v[80:81], v[82:83]
	v_add_f64 v[2:3], v[184:185], v[2:3]
	v_add_f64 v[76:77], v[76:77], -v[162:163]
	v_add_f64 v[78:79], v[78:79], v[80:81]
	v_add_f64 v[2:3], v[2:3], v[4:5]
	v_mul_f64 v[4:5], v[190:191], s[18:19]
	v_add_f64 v[76:77], v[76:77], v[78:79]
	v_mul_f64 v[82:83], v[138:139], s[8:9]
	v_add_f64 v[4:5], v[4:5], -v[174:175]
	v_add_f64 v[6:7], v[6:7], v[76:77]
	v_mul_f64 v[80:81], v[146:147], s[20:21]
	v_add_f64 v[82:83], v[240:241], v[82:83]
	v_add_f64 v[108:109], v[4:5], v[6:7]
	v_mul_f64 v[4:5], v[172:173], s[0:1]
	v_mul_f64 v[78:79], v[152:153], s[10:11]
	v_add_f64 v[80:81], v[244:245], v[80:81]
	v_add_f64 v[82:83], v[10:11], v[82:83]
	v_mul_f64 v[0:1], v[196:197], s[18:19]
	v_add_f64 v[4:5], v[114:115], v[4:5]
	v_mul_f64 v[6:7], v[166:167], s[18:19]
	v_add_f64 v[78:79], v[250:251], v[78:79]
	v_add_f64 v[80:81], v[80:81], v[82:83]
	v_mul_f64 v[114:115], v[134:135], s[8:9]
	v_add_f64 v[0:1], v[186:187], v[0:1]
	v_add_f64 v[6:7], v[112:113], v[6:7]
	;; [unrolled: 1-line block ×3, first 2 shown]
	v_mul_f64 v[80:81], v[138:139], s[0:1]
	v_mul_f64 v[112:113], v[138:139], s[18:19]
	;; [unrolled: 1-line block ×3, first 2 shown]
	v_add_f64 v[114:115], v[114:115], -v[222:223]
	v_add_f64 v[110:111], v[0:1], v[2:3]
	v_mul_f64 v[0:1], v[196:197], s[24:25]
	v_mul_f64 v[76:77], v[160:161], s[22:23]
	;; [unrolled: 1-line block ×3, first 2 shown]
	v_add_f64 v[138:139], v[138:139], -v[224:225]
	v_add_f64 v[114:115], v[8:9], v[114:115]
	v_add_f64 v[0:1], v[130:131], v[0:1]
	v_add_f64 v[76:77], v[252:253], v[76:77]
	v_mul_f64 v[130:131], v[158:159], s[22:23]
	v_add_f64 v[132:133], v[132:133], -v[228:229]
	v_add_f64 v[114:115], v[138:139], v[114:115]
	v_add_f64 v[100:101], v[124:125], v[100:101]
	;; [unrolled: 1-line block ×3, first 2 shown]
	v_mul_f64 v[124:125], v[164:165], s[18:19]
	v_add_f64 v[130:131], v[130:131], -v[230:231]
	v_add_f64 v[114:115], v[132:133], v[114:115]
	v_add_f64 v[6:7], v[6:7], v[76:77]
	v_mul_f64 v[122:123], v[170:171], s[0:1]
	v_add_f64 v[124:125], v[124:125], -v[234:235]
	v_add_f64 v[114:115], v[130:131], v[114:115]
	v_add_f64 v[4:5], v[4:5], v[6:7]
	v_mul_f64 v[6:7], v[178:179], s[16:17]
	v_add_f64 v[122:123], v[122:123], -v[236:237]
	v_add_f64 v[114:115], v[124:125], v[114:115]
	v_add_f64 v[6:7], v[6:7], -v[242:243]
	v_add_f64 v[114:115], v[122:123], v[114:115]
	v_mul_f64 v[138:139], v[158:159], s[16:17]
	v_mul_f64 v[148:149], v[158:159], s[10:11]
	v_add_f64 v[6:7], v[6:7], v[114:115]
	v_mul_f64 v[114:115], v[172:173], s[20:21]
	v_mul_f64 v[158:159], v[172:173], s[22:23]
	v_accvgpr_read_b32 v173, a75
	v_accvgpr_read_b32 v172, a74
	v_add_f64 v[158:159], v[172:173], v[158:159]
	v_accvgpr_read_b32 v173, a45
	v_mul_f64 v[154:155], v[166:167], s[24:25]
	v_accvgpr_read_b32 v172, a44
	v_add_f64 v[154:155], v[172:173], v[154:155]
	v_accvgpr_read_b32 v173, a41
	v_mul_f64 v[140:141], v[150:151], s[8:9]
	v_mul_f64 v[144:145], v[150:151], s[20:21]
	;; [unrolled: 1-line block ×3, first 2 shown]
	v_accvgpr_read_b32 v172, a40
	v_mul_f64 v[2:3], v[176:177], s[16:17]
	v_add_f64 v[150:151], v[172:173], v[150:151]
	v_accvgpr_read_b32 v173, a35
	v_add_f64 v[2:3], v[120:121], v[2:3]
	v_mul_f64 v[120:121], v[146:147], s[18:19]
	v_mul_f64 v[136:137], v[146:147], s[16:17]
	;; [unrolled: 1-line block ×3, first 2 shown]
	v_accvgpr_read_b32 v172, a34
	v_add_f64 v[146:147], v[172:173], v[146:147]
	v_accvgpr_read_b32 v173, a31
	v_accvgpr_read_b32 v172, a30
	v_add_f64 v[136:137], v[172:173], v[136:137]
	v_accvgpr_read_b32 v173, a29
	v_accvgpr_read_b32 v172, a28
	v_add_f64 v[112:113], v[172:173], v[112:113]
	v_add_f64 v[112:113], v[10:11], v[112:113]
	;; [unrolled: 1-line block ×5, first 2 shown]
	v_accvgpr_read_b32 v151, a27
	v_accvgpr_read_b32 v150, a26
	v_add_f64 v[148:149], v[148:149], -v[150:151]
	v_accvgpr_read_b32 v151, a25
	v_accvgpr_read_b32 v150, a24
	v_add_f64 v[144:145], v[144:145], -v[150:151]
	v_accvgpr_read_b32 v151, a23
	v_mul_f64 v[82:83], v[134:135], s[0:1]
	v_mul_f64 v[78:79], v[134:135], s[18:19]
	;; [unrolled: 1-line block ×3, first 2 shown]
	v_accvgpr_read_b32 v150, a22
	v_add_f64 v[134:135], v[134:135], -v[150:151]
	v_accvgpr_read_b32 v151, a21
	v_accvgpr_read_b32 v150, a20
	v_add_f64 v[78:79], v[78:79], -v[150:151]
	v_add_f64 v[78:79], v[8:9], v[78:79]
	v_accvgpr_read_b32 v147, a33
	v_add_f64 v[78:79], v[134:135], v[78:79]
	v_mul_f64 v[76:77], v[142:143], s[18:19]
	v_mul_f64 v[142:143], v[152:153], s[8:9]
	;; [unrolled: 1-line block ×3, first 2 shown]
	v_accvgpr_read_b32 v137, a37
	v_accvgpr_read_b32 v146, a32
	v_add_f64 v[78:79], v[144:145], v[78:79]
	v_mul_f64 v[156:157], v[170:171], s[22:23]
	v_accvgpr_read_b32 v136, a36
	v_add_f64 v[146:147], v[152:153], -v[146:147]
	v_add_f64 v[78:79], v[148:149], v[78:79]
	v_add_f64 v[136:137], v[156:157], -v[136:137]
	v_add_f64 v[78:79], v[146:147], v[78:79]
	v_add_f64 v[78:79], v[136:137], v[78:79]
	v_accvgpr_read_b32 v137, a59
	v_accvgpr_read_b32 v136, a58
	v_add_f64 v[120:121], v[136:137], v[120:121]
	v_accvgpr_read_b32 v137, a57
	v_accvgpr_read_b32 v136, a56
	v_add_f64 v[80:81], v[136:137], v[80:81]
	v_add_f64 v[80:81], v[10:11], v[80:81]
	;; [unrolled: 1-line block ×3, first 2 shown]
	v_accvgpr_read_b32 v121, a63
	v_mul_f64 v[130:131], v[164:165], s[22:23]
	v_accvgpr_read_b32 v120, a62
	v_accvgpr_read_b32 v135, a73
	v_add_f64 v[120:121], v[130:131], -v[120:121]
	v_accvgpr_read_b32 v131, a53
	v_accvgpr_read_b32 v134, a72
	;; [unrolled: 1-line block ×3, first 2 shown]
	v_add_f64 v[114:115], v[134:135], v[114:115]
	v_accvgpr_read_b32 v135, a71
	v_add_f64 v[76:77], v[76:77], -v[130:131]
	v_accvgpr_read_b32 v131, a51
	v_mul_f64 v[124:125], v[166:167], s[22:23]
	v_accvgpr_read_b32 v134, a70
	v_accvgpr_read_b32 v130, a50
	v_add_f64 v[124:125], v[134:135], v[124:125]
	v_accvgpr_read_b32 v135, a69
	v_add_f64 v[82:83], v[82:83], -v[130:131]
	v_mul_f64 v[132:133], v[160:161], s[16:17]
	v_accvgpr_read_b32 v134, a68
	v_add_f64 v[82:83], v[8:9], v[82:83]
	v_add_f64 v[10:11], v[10:11], v[14:15]
	;; [unrolled: 1-line block ×4, first 2 shown]
	v_accvgpr_read_b32 v135, a67
	v_add_f64 v[10:11], v[10:11], v[18:19]
	v_add_f64 v[8:9], v[8:9], v[16:17]
	;; [unrolled: 1-line block ×3, first 2 shown]
	v_mul_f64 v[4:5], v[190:191], s[24:25]
	v_accvgpr_read_b32 v134, a66
	v_add_f64 v[10:11], v[10:11], v[22:23]
	v_add_f64 v[8:9], v[8:9], v[20:21]
	v_add_f64 v[4:5], v[4:5], -v[248:249]
	v_accvgpr_read_b32 v167, a77
	v_add_f64 v[134:135], v[134:135], v[142:143]
	v_add_f64 v[10:11], v[10:11], v[26:27]
	;; [unrolled: 1-line block ×5, first 2 shown]
	v_mul_f64 v[6:7], v[176:177], s[8:9]
	v_accvgpr_read_b32 v166, a76
	v_add_f64 v[112:113], v[154:155], v[112:113]
	v_add_f64 v[80:81], v[134:135], v[80:81]
	;; [unrolled: 1-line block ×4, first 2 shown]
	v_mul_f64 v[4:5], v[196:197], s[0:1]
	v_add_f64 v[6:7], v[166:167], v[6:7]
	v_add_f64 v[112:113], v[158:159], v[112:113]
	;; [unrolled: 1-line block ×7, first 2 shown]
	v_accvgpr_read_b32 v113, a39
	v_add_f64 v[80:81], v[124:125], v[80:81]
	v_add_f64 v[10:11], v[10:11], v[38:39]
	;; [unrolled: 1-line block ×3, first 2 shown]
	v_mul_f64 v[164:165], v[178:179], s[8:9]
	v_add_f64 v[6:7], v[4:5], v[6:7]
	v_accvgpr_read_b32 v4, a42
	v_accvgpr_read_b32 v112, a38
	v_add_f64 v[80:81], v[114:115], v[80:81]
	v_accvgpr_read_b32 v115, a65
	v_add_f64 v[10:11], v[10:11], v[42:43]
	v_add_f64 v[8:9], v[8:9], v[40:41]
	v_mul_f64 v[122:123], v[170:171], s[20:21]
	v_mul_f64 v[170:171], v[190:191], s[0:1]
	v_accvgpr_read_b32 v5, a43
	v_add_f64 v[112:113], v[164:165], -v[112:113]
	v_accvgpr_read_b32 v114, a64
	v_accvgpr_read_b32 v125, a55
	v_add_f64 v[10:11], v[10:11], v[46:47]
	v_add_f64 v[8:9], v[8:9], v[44:45]
	v_add_f64 v[4:5], v[170:171], -v[4:5]
	v_add_f64 v[78:79], v[112:113], v[78:79]
	v_accvgpr_read_b32 v113, a15
	v_add_f64 v[114:115], v[122:123], -v[114:115]
	v_accvgpr_read_b32 v123, a61
	v_accvgpr_read_b32 v124, a54
	v_add_f64 v[10:11], v[10:11], v[50:51]
	v_add_f64 v[8:9], v[8:9], v[48:49]
	v_mul_f64 v[162:163], v[176:177], s[24:25]
	v_add_f64 v[4:5], v[4:5], v[78:79]
	v_accvgpr_read_b32 v79, a19
	v_accvgpr_read_b32 v112, a14
	;; [unrolled: 1-line block ×3, first 2 shown]
	v_add_f64 v[124:125], v[140:141], -v[124:125]
	v_add_f64 v[76:77], v[76:77], v[82:83]
	v_add_f64 v[10:11], v[10:11], v[54:55]
	;; [unrolled: 1-line block ×3, first 2 shown]
	v_mul_f64 v[168:169], v[196:197], s[10:11]
	v_accvgpr_read_b32 v78, a18
	v_add_f64 v[112:113], v[112:113], v[162:163]
	v_add_f64 v[122:123], v[138:139], -v[122:123]
	v_add_f64 v[76:77], v[124:125], v[76:77]
	v_add_f64 v[10:11], v[10:11], v[58:59]
	;; [unrolled: 1-line block ×3, first 2 shown]
	v_accvgpr_read_b32 v199, a3
	v_add_f64 v[78:79], v[78:79], v[168:169]
	v_add_f64 v[80:81], v[112:113], v[80:81]
	v_accvgpr_read_b32 v113, a79
	v_add_f64 v[76:77], v[122:123], v[76:77]
	v_add_f64 v[10:11], v[10:11], v[62:63]
	;; [unrolled: 1-line block ×3, first 2 shown]
	v_accvgpr_read_b32 v198, a2
	v_mul_f64 v[160:161], v[178:179], s[24:25]
	v_add_f64 v[78:79], v[78:79], v[80:81]
	v_accvgpr_read_b32 v81, a17
	v_accvgpr_read_b32 v112, a78
	v_add_f64 v[76:77], v[120:121], v[76:77]
	v_add_f64 v[10:11], v[10:11], v[66:67]
	v_add_f64 v[8:9], v[8:9], v[64:65]
	v_accvgpr_read_b32 v201, a1
	v_accvgpr_read_b32 v207, a9
	v_mul_f64 v[166:167], v[190:191], s[10:11]
	v_accvgpr_read_b32 v80, a16
	v_add_f64 v[112:113], v[160:161], -v[112:113]
	v_add_f64 v[76:77], v[114:115], v[76:77]
	v_add_f64 v[10:11], v[10:11], v[70:71]
	;; [unrolled: 1-line block ×3, first 2 shown]
	v_mul_lo_u16_e32 v12, 17, v198
	v_accvgpr_read_b32 v194, a0
	v_accvgpr_read_b32 v200, a4
	;; [unrolled: 1-line block ×6, first 2 shown]
	v_add_f64 v[80:81], v[166:167], -v[80:81]
	v_add_f64 v[76:77], v[112:113], v[76:77]
	v_add_f64 v[10:11], v[10:11], v[74:75]
	;; [unrolled: 1-line block ×3, first 2 shown]
	v_add_lshl_u32 v12, v201, v12, 4
	v_add_f64 v[76:77], v[80:81], v[76:77]
	ds_write_b128 v12, v[8:11]
	ds_write_b128 v12, v[76:79] offset:16
	ds_write_b128 v12, v[4:7] offset:32
	;; [unrolled: 1-line block ×16, first 2 shown]
.LBB0_7:
	s_or_b64 exec, exec, s[28:29]
	s_movk_i32 s0, 0xf1
	v_mul_lo_u16_sdwa v0, v198, s0 dst_sel:DWORD dst_unused:UNUSED_PAD src0_sel:BYTE_0 src1_sel:DWORD
	v_lshrrev_b16_e32 v4, 12, v0
	v_mul_lo_u16_e32 v0, 17, v4
	v_sub_u16_e32 v5, v198, v0
	v_mov_b32_e32 v0, 12
	v_mul_u32_u24_sdwa v0, v5, v0 dst_sel:DWORD dst_unused:UNUSED_PAD src0_sel:BYTE_0 src1_sel:DWORD
	v_lshlrev_b32_e32 v0, 4, v0
	s_load_dwordx4 s[8:11], s[2:3], 0x0
	s_waitcnt lgkmcnt(0)
	s_barrier
	global_load_dwordx4 v[42:45], v0, s[6:7]
	global_load_dwordx4 v[32:35], v0, s[6:7] offset:16
	global_load_dwordx4 v[48:51], v0, s[6:7] offset:32
	;; [unrolled: 1-line block ×11, first 2 shown]
	v_add_lshl_u32 v192, v201, v198, 4
	ds_read_b128 v[86:89], v192
	ds_read_b128 v[6:9], v192 offset:1360
	ds_read_b128 v[10:13], v192 offset:2720
	;; [unrolled: 1-line block ×12, first 2 shown]
	s_mov_b32 s28, 0x42a4c3d2
	s_mov_b32 s38, 0x66966769
	;; [unrolled: 1-line block ×30, first 2 shown]
	v_mul_u32_u24_e32 v4, 0xdd, v4
	v_add_u32_sdwa v4, v4, v5 dst_sel:DWORD dst_unused:UNUSED_PAD src0_sel:DWORD src1_sel:BYTE_0
	v_add_lshl_u32 v193, v201, v4, 4
	s_waitcnt lgkmcnt(0)
	s_barrier
	s_waitcnt vmcnt(11)
	v_mul_f64 v[14:15], v[8:9], v[44:45]
	v_mul_f64 v[114:115], v[6:7], v[44:45]
	s_waitcnt vmcnt(10)
	v_mul_f64 v[84:85], v[12:13], v[34:35]
	v_fma_f64 v[6:7], v[6:7], v[42:43], -v[14:15]
	s_waitcnt vmcnt(9)
	v_mul_f64 v[134:135], v[22:23], v[50:51]
	v_fmac_f64_e32 v[114:115], v[8:9], v[42:43]
	v_fma_f64 v[158:159], v[10:11], v[32:33], -v[84:85]
	v_add_f64 v[8:9], v[86:87], v[6:7]
	s_waitcnt vmcnt(8)
	v_mul_f64 v[136:137], v[78:79], v[38:39]
	v_fma_f64 v[84:85], v[20:21], v[48:49], -v[134:135]
	v_add_f64 v[8:9], v[8:9], v[158:159]
	v_mul_f64 v[72:73], v[76:77], v[38:39]
	s_waitcnt vmcnt(7)
	v_mul_f64 v[138:139], v[92:93], v[54:55]
	v_fma_f64 v[76:77], v[76:77], v[36:37], -v[136:137]
	v_add_f64 v[8:9], v[8:9], v[84:85]
	v_mul_f64 v[124:125], v[10:11], v[34:35]
	v_mul_f64 v[80:81], v[20:21], v[50:51]
	s_waitcnt vmcnt(6)
	v_mul_f64 v[140:141], v[96:97], v[162:163]
	v_fma_f64 v[20:21], v[90:91], v[52:53], -v[138:139]
	v_add_f64 v[8:9], v[8:9], v[76:77]
	s_waitcnt vmcnt(5)
	v_mul_f64 v[142:143], v[100:101], v[30:31]
	v_fmac_f64_e32 v[124:125], v[12:13], v[32:33]
	v_fma_f64 v[12:13], v[94:95], v[160:161], -v[140:141]
	v_add_f64 v[8:9], v[8:9], v[20:21]
	s_waitcnt vmcnt(4)
	v_mul_f64 v[144:145], v[104:105], v[26:27]
	v_fma_f64 v[14:15], v[98:99], v[28:29], -v[142:143]
	v_add_f64 v[8:9], v[8:9], v[12:13]
	s_waitcnt vmcnt(3)
	v_mul_f64 v[146:147], v[108:109], v[70:71]
	v_fmac_f64_e32 v[80:81], v[22:23], v[48:49]
	v_fma_f64 v[22:23], v[102:103], v[24:25], -v[144:145]
	v_add_f64 v[8:9], v[8:9], v[14:15]
	s_waitcnt vmcnt(2)
	v_mul_f64 v[148:149], v[112:113], v[66:67]
	v_fmac_f64_e32 v[72:73], v[78:79], v[36:37]
	v_fma_f64 v[78:79], v[106:107], v[68:69], -v[146:147]
	v_add_f64 v[8:9], v[8:9], v[22:23]
	v_mul_f64 v[16:17], v[90:91], v[54:55]
	s_waitcnt vmcnt(1)
	v_mul_f64 v[150:151], v[122:123], v[62:63]
	v_fma_f64 v[90:91], v[110:111], v[64:65], -v[148:149]
	v_add_f64 v[8:9], v[8:9], v[78:79]
	s_waitcnt vmcnt(0)
	v_mul_f64 v[154:155], v[132:133], v[58:59]
	v_mul_f64 v[156:157], v[130:131], v[58:59]
	v_fmac_f64_e32 v[16:17], v[92:93], v[52:53]
	v_fma_f64 v[92:93], v[120:121], v[60:61], -v[150:151]
	v_add_f64 v[10:11], v[88:89], v[114:115]
	v_add_f64 v[8:9], v[8:9], v[90:91]
	v_mul_f64 v[0:1], v[94:95], v[162:163]
	v_fma_f64 v[94:95], v[130:131], v[56:57], -v[154:155]
	v_fmac_f64_e32 v[156:157], v[132:133], v[56:57]
	v_add_f64 v[10:11], v[10:11], v[124:125]
	v_add_f64 v[8:9], v[8:9], v[92:93]
	v_mul_f64 v[2:3], v[98:99], v[30:31]
	v_mul_f64 v[18:19], v[102:103], v[26:27]
	;; [unrolled: 1-line block ×5, first 2 shown]
	v_fmac_f64_e32 v[0:1], v[96:97], v[160:161]
	v_add_f64 v[10:11], v[10:11], v[80:81]
	v_add_f64 v[8:9], v[8:9], v[94:95]
	;; [unrolled: 1-line block ×3, first 2 shown]
	v_add_f64 v[6:7], v[6:7], -v[94:95]
	v_add_f64 v[94:95], v[114:115], -v[156:157]
	v_fmac_f64_e32 v[2:3], v[100:101], v[28:29]
	v_fmac_f64_e32 v[18:19], v[104:105], v[24:25]
	;; [unrolled: 1-line block ×5, first 2 shown]
	v_add_f64 v[10:11], v[10:11], v[72:73]
	v_add_f64 v[98:99], v[114:115], v[156:157]
	v_mul_f64 v[100:101], v[94:95], s[18:19]
	v_mul_f64 v[104:105], v[6:7], s[18:19]
	;; [unrolled: 1-line block ×12, first 2 shown]
	v_add_f64 v[10:11], v[10:11], v[16:17]
	v_fma_f64 v[102:103], v[96:97], s[16:17], -v[100:101]
	v_fma_f64 v[106:107], s[16:17], v[98:99], v[104:105]
	v_fmac_f64_e32 v[100:101], s[16:17], v[96:97]
	v_fma_f64 v[104:105], v[98:99], s[16:17], -v[104:105]
	v_fma_f64 v[110:111], v[96:97], s[2:3], -v[108:109]
	v_fma_f64 v[114:115], s[2:3], v[98:99], v[112:113]
	v_fmac_f64_e32 v[108:109], s[2:3], v[96:97]
	v_fma_f64 v[112:113], v[98:99], s[2:3], -v[112:113]
	;; [unrolled: 4-line block ×6, first 2 shown]
	v_add_f64 v[96:97], v[124:125], -v[152:153]
	v_add_f64 v[10:11], v[10:11], v[0:1]
	v_add_f64 v[106:107], v[88:89], v[106:107]
	;; [unrolled: 1-line block ×14, first 2 shown]
	v_mul_f64 v[98:99], v[96:97], s[28:29]
	v_add_f64 v[10:11], v[10:11], v[2:3]
	v_add_f64 v[102:103], v[86:87], v[102:103]
	;; [unrolled: 1-line block ×14, first 2 shown]
	v_add_f64 v[92:93], v[158:159], -v[92:93]
	v_fma_f64 v[124:125], v[88:89], s[2:3], -v[98:99]
	v_add_f64 v[10:11], v[10:11], v[18:19]
	v_add_f64 v[102:103], v[124:125], v[102:103]
	v_mul_f64 v[124:125], v[92:93], s[28:29]
	v_fmac_f64_e32 v[98:99], s[2:3], v[88:89]
	v_add_f64 v[10:11], v[10:11], v[74:75]
	v_add_f64 v[98:99], v[98:99], v[100:101]
	v_fma_f64 v[100:101], v[94:95], s[2:3], -v[124:125]
	v_add_f64 v[10:11], v[10:11], v[82:83]
	v_add_f64 v[100:101], v[100:101], v[104:105]
	v_mul_f64 v[104:105], v[96:97], s[22:23]
	v_add_f64 v[10:11], v[10:11], v[152:153]
	v_fma_f64 v[152:153], s[2:3], v[94:95], v[124:125]
	v_fma_f64 v[124:125], v[88:89], s[20:21], -v[104:105]
	v_add_f64 v[110:111], v[124:125], v[110:111]
	v_mul_f64 v[124:125], v[92:93], s[22:23]
	v_fmac_f64_e32 v[104:105], s[20:21], v[88:89]
	v_add_f64 v[104:105], v[104:105], v[108:109]
	v_fma_f64 v[108:109], v[94:95], s[20:21], -v[124:125]
	v_add_f64 v[108:109], v[108:109], v[112:113]
	v_mul_f64 v[112:113], v[96:97], s[36:37]
	v_add_f64 v[106:107], v[152:153], v[106:107]
	v_fma_f64 v[152:153], s[20:21], v[94:95], v[124:125]
	v_fma_f64 v[124:125], v[88:89], s[34:35], -v[112:113]
	v_add_f64 v[122:123], v[124:125], v[122:123]
	v_mul_f64 v[124:125], v[92:93], s[36:37]
	v_fmac_f64_e32 v[112:113], s[34:35], v[88:89]
	v_add_f64 v[114:115], v[152:153], v[114:115]
	v_fma_f64 v[152:153], s[34:35], v[94:95], v[124:125]
	v_add_f64 v[112:113], v[112:113], v[120:121]
	v_fma_f64 v[120:121], v[94:95], s[34:35], -v[124:125]
	v_mul_f64 v[124:125], v[96:97], s[40:41]
	v_add_f64 v[120:121], v[120:121], v[130:131]
	v_fma_f64 v[130:131], v[88:89], s[24:25], -v[124:125]
	v_add_f64 v[130:131], v[130:131], v[136:137]
	v_mul_f64 v[136:137], v[92:93], s[40:41]
	v_fmac_f64_e32 v[124:125], s[24:25], v[88:89]
	v_add_f64 v[132:133], v[152:153], v[132:133]
	v_fma_f64 v[152:153], s[24:25], v[94:95], v[136:137]
	v_add_f64 v[124:125], v[124:125], v[134:135]
	v_fma_f64 v[134:135], v[94:95], s[24:25], -v[136:137]
	v_mul_f64 v[136:137], v[96:97], s[30:31]
	v_add_f64 v[134:135], v[134:135], v[138:139]
	v_fma_f64 v[138:139], v[88:89], s[0:1], -v[136:137]
	v_add_f64 v[138:139], v[138:139], v[144:145]
	v_mul_f64 v[144:145], v[92:93], s[30:31]
	v_fmac_f64_e32 v[136:137], s[0:1], v[88:89]
	s_mov_b32 s19, 0x3fddbe06
	v_add_f64 v[136:137], v[136:137], v[142:143]
	v_fma_f64 v[142:143], v[94:95], s[0:1], -v[144:145]
	v_mul_f64 v[96:97], v[96:97], s[18:19]
	v_mul_f64 v[92:93], v[92:93], s[18:19]
	v_add_f64 v[140:141], v[152:153], v[140:141]
	v_fma_f64 v[152:153], s[0:1], v[94:95], v[144:145]
	v_add_f64 v[142:143], v[142:143], v[146:147]
	v_fma_f64 v[144:145], v[88:89], s[16:17], -v[96:97]
	v_fma_f64 v[146:147], s[16:17], v[94:95], v[92:93]
	v_fmac_f64_e32 v[96:97], s[16:17], v[88:89]
	v_fma_f64 v[88:89], v[94:95], s[16:17], -v[92:93]
	v_add_f64 v[92:93], v[80:81], v[82:83]
	v_add_f64 v[80:81], v[80:81], -v[82:83]
	v_add_f64 v[6:7], v[88:89], v[6:7]
	v_add_f64 v[88:89], v[84:85], v[90:91]
	v_add_f64 v[84:85], v[84:85], -v[90:91]
	v_mul_f64 v[82:83], v[80:81], s[38:39]
	v_fma_f64 v[90:91], v[88:89], s[0:1], -v[82:83]
	v_mul_f64 v[94:95], v[84:85], s[38:39]
	v_fmac_f64_e32 v[82:83], s[0:1], v[88:89]
	v_add_f64 v[86:87], v[96:97], v[86:87]
	v_fma_f64 v[96:97], s[0:1], v[92:93], v[94:95]
	v_add_f64 v[82:83], v[82:83], v[98:99]
	v_fma_f64 v[94:95], v[92:93], s[0:1], -v[94:95]
	v_mul_f64 v[98:99], v[80:81], s[36:37]
	v_add_f64 v[90:91], v[90:91], v[102:103]
	v_add_f64 v[94:95], v[94:95], v[100:101]
	v_fma_f64 v[100:101], v[88:89], s[34:35], -v[98:99]
	v_mul_f64 v[102:103], v[84:85], s[36:37]
	v_fmac_f64_e32 v[98:99], s[34:35], v[88:89]
	v_add_f64 v[96:97], v[96:97], v[106:107]
	v_fma_f64 v[106:107], s[34:35], v[92:93], v[102:103]
	v_add_f64 v[98:99], v[98:99], v[104:105]
	v_fma_f64 v[102:103], v[92:93], s[34:35], -v[102:103]
	v_mul_f64 v[104:105], v[80:81], s[42:43]
	v_add_f64 v[100:101], v[100:101], v[110:111]
	v_add_f64 v[102:103], v[102:103], v[108:109]
	v_fma_f64 v[108:109], v[88:89], s[20:21], -v[104:105]
	v_mul_f64 v[110:111], v[84:85], s[42:43]
	v_fmac_f64_e32 v[104:105], s[20:21], v[88:89]
	v_add_f64 v[106:107], v[106:107], v[114:115]
	v_fma_f64 v[114:115], s[20:21], v[92:93], v[110:111]
	v_add_f64 v[104:105], v[104:105], v[112:113]
	v_fma_f64 v[110:111], v[92:93], s[20:21], -v[110:111]
	v_mul_f64 v[112:113], v[80:81], s[18:19]
	v_add_f64 v[110:111], v[110:111], v[120:121]
	v_fma_f64 v[120:121], v[88:89], s[16:17], -v[112:113]
	v_fmac_f64_e32 v[112:113], s[16:17], v[88:89]
	v_add_f64 v[108:109], v[108:109], v[122:123]
	v_mul_f64 v[122:123], v[84:85], s[18:19]
	v_add_f64 v[112:113], v[112:113], v[124:125]
	v_mul_f64 v[124:125], v[80:81], s[28:29]
	v_add_f64 v[114:115], v[114:115], v[132:133]
	v_add_f64 v[120:121], v[120:121], v[130:131]
	v_fma_f64 v[130:131], s[16:17], v[92:93], v[122:123]
	v_fma_f64 v[122:123], v[92:93], s[16:17], -v[122:123]
	v_fma_f64 v[132:133], v[88:89], s[2:3], -v[124:125]
	v_fmac_f64_e32 v[124:125], s[2:3], v[88:89]
	v_mul_f64 v[80:81], v[80:81], s[26:27]
	v_add_f64 v[122:123], v[122:123], v[134:135]
	v_mul_f64 v[134:135], v[84:85], s[28:29]
	v_add_f64 v[124:125], v[124:125], v[136:137]
	v_fma_f64 v[136:137], v[88:89], s[24:25], -v[80:81]
	v_mul_f64 v[84:85], v[84:85], s[26:27]
	v_fmac_f64_e32 v[80:81], s[24:25], v[88:89]
	v_add_f64 v[130:131], v[130:131], v[140:141]
	v_fma_f64 v[140:141], s[24:25], v[92:93], v[84:85]
	v_add_f64 v[80:81], v[80:81], v[86:87]
	v_fma_f64 v[84:85], v[92:93], s[24:25], -v[84:85]
	v_add_f64 v[86:87], v[72:73], v[74:75]
	v_add_f64 v[72:73], v[72:73], -v[74:75]
	v_add_f64 v[6:7], v[84:85], v[6:7]
	v_add_f64 v[84:85], v[76:77], v[78:79]
	v_add_f64 v[76:77], v[76:77], -v[78:79]
	v_mul_f64 v[74:75], v[72:73], s[22:23]
	v_fma_f64 v[78:79], v[84:85], s[20:21], -v[74:75]
	v_mul_f64 v[88:89], v[76:77], s[22:23]
	v_fmac_f64_e32 v[74:75], s[20:21], v[84:85]
	v_add_f64 v[78:79], v[78:79], v[90:91]
	v_fma_f64 v[90:91], s[20:21], v[86:87], v[88:89]
	v_add_f64 v[74:75], v[74:75], v[82:83]
	v_fma_f64 v[82:83], v[86:87], s[20:21], -v[88:89]
	v_mul_f64 v[88:89], v[72:73], s[40:41]
	v_add_f64 v[132:133], v[132:133], v[138:139]
	v_fma_f64 v[138:139], s[2:3], v[92:93], v[134:135]
	v_fma_f64 v[134:135], v[92:93], s[2:3], -v[134:135]
	v_fma_f64 v[92:93], v[84:85], s[24:25], -v[88:89]
	v_fmac_f64_e32 v[88:89], s[24:25], v[84:85]
	v_add_f64 v[82:83], v[82:83], v[94:95]
	v_mul_f64 v[94:95], v[76:77], s[40:41]
	v_add_f64 v[88:89], v[88:89], v[98:99]
	v_mul_f64 v[98:99], v[72:73], s[18:19]
	v_add_f64 v[90:91], v[90:91], v[96:97]
	v_add_f64 v[92:93], v[92:93], v[100:101]
	v_fma_f64 v[96:97], s[24:25], v[86:87], v[94:95]
	v_fma_f64 v[94:95], v[86:87], s[24:25], -v[94:95]
	v_fma_f64 v[100:101], v[84:85], s[16:17], -v[98:99]
	v_fmac_f64_e32 v[98:99], s[16:17], v[84:85]
	v_add_f64 v[94:95], v[94:95], v[102:103]
	v_mul_f64 v[102:103], v[76:77], s[18:19]
	v_add_f64 v[98:99], v[98:99], v[104:105]
	v_mul_f64 v[104:105], v[72:73], s[38:39]
	v_add_f64 v[96:97], v[96:97], v[106:107]
	v_add_f64 v[100:101], v[100:101], v[108:109]
	v_fma_f64 v[106:107], s[16:17], v[86:87], v[102:103]
	v_fma_f64 v[102:103], v[86:87], s[16:17], -v[102:103]
	v_fma_f64 v[108:109], v[84:85], s[0:1], -v[104:105]
	v_fmac_f64_e32 v[104:105], s[0:1], v[84:85]
	s_mov_b32 s41, 0x3fcea1e5
	s_mov_b32 s40, s36
	v_add_f64 v[102:103], v[102:103], v[110:111]
	v_mul_f64 v[110:111], v[76:77], s[38:39]
	v_add_f64 v[104:105], v[104:105], v[112:113]
	v_mul_f64 v[112:113], v[72:73], s[40:41]
	s_mov_b32 s39, 0x3fea55e2
	s_mov_b32 s38, s28
	v_add_f64 v[106:107], v[106:107], v[114:115]
	v_add_f64 v[108:109], v[108:109], v[120:121]
	v_fma_f64 v[114:115], s[0:1], v[86:87], v[110:111]
	v_fma_f64 v[110:111], v[86:87], s[0:1], -v[110:111]
	v_fma_f64 v[120:121], v[84:85], s[34:35], -v[112:113]
	v_fmac_f64_e32 v[112:113], s[34:35], v[84:85]
	v_mul_f64 v[72:73], v[72:73], s[38:39]
	v_add_f64 v[110:111], v[110:111], v[122:123]
	v_mul_f64 v[122:123], v[76:77], s[40:41]
	v_add_f64 v[112:113], v[112:113], v[124:125]
	v_fma_f64 v[124:125], v[84:85], s[2:3], -v[72:73]
	v_mul_f64 v[76:77], v[76:77], s[38:39]
	v_fmac_f64_e32 v[72:73], s[2:3], v[84:85]
	v_add_f64 v[120:121], v[120:121], v[132:133]
	v_fma_f64 v[132:133], s[2:3], v[86:87], v[76:77]
	v_add_f64 v[72:73], v[72:73], v[80:81]
	v_fma_f64 v[76:77], v[86:87], s[2:3], -v[76:77]
	v_add_f64 v[80:81], v[16:17], v[18:19]
	v_add_f64 v[16:17], v[16:17], -v[18:19]
	v_add_f64 v[6:7], v[76:77], v[6:7]
	v_add_f64 v[76:77], v[20:21], v[22:23]
	v_mul_f64 v[18:19], v[16:17], s[26:27]
	v_add_f64 v[20:21], v[20:21], -v[22:23]
	v_fma_f64 v[22:23], v[76:77], s[24:25], -v[18:19]
	v_add_f64 v[22:23], v[22:23], v[78:79]
	v_mul_f64 v[78:79], v[20:21], s[26:27]
	v_fmac_f64_e32 v[18:19], s[24:25], v[76:77]
	v_fma_f64 v[84:85], s[24:25], v[80:81], v[78:79]
	v_add_f64 v[18:19], v[18:19], v[74:75]
	v_fma_f64 v[74:75], v[80:81], s[24:25], -v[78:79]
	v_mul_f64 v[78:79], v[16:17], s[30:31]
	v_add_f64 v[114:115], v[114:115], v[130:131]
	v_fma_f64 v[130:131], s[34:35], v[86:87], v[122:123]
	v_fma_f64 v[122:123], v[86:87], s[34:35], -v[122:123]
	v_add_f64 v[74:75], v[74:75], v[82:83]
	v_fma_f64 v[82:83], v[76:77], s[0:1], -v[78:79]
	v_mul_f64 v[86:87], v[20:21], s[30:31]
	v_fmac_f64_e32 v[78:79], s[0:1], v[76:77]
	v_add_f64 v[84:85], v[84:85], v[90:91]
	v_fma_f64 v[90:91], s[0:1], v[80:81], v[86:87]
	v_add_f64 v[78:79], v[78:79], v[88:89]
	v_fma_f64 v[86:87], v[80:81], s[0:1], -v[86:87]
	v_mul_f64 v[88:89], v[16:17], s[28:29]
	v_add_f64 v[82:83], v[82:83], v[92:93]
	v_add_f64 v[86:87], v[86:87], v[94:95]
	v_fma_f64 v[92:93], v[76:77], s[2:3], -v[88:89]
	v_mul_f64 v[94:95], v[20:21], s[28:29]
	v_fmac_f64_e32 v[88:89], s[2:3], v[76:77]
	v_add_f64 v[90:91], v[90:91], v[96:97]
	v_fma_f64 v[96:97], s[2:3], v[80:81], v[94:95]
	v_add_f64 v[88:89], v[88:89], v[98:99]
	v_fma_f64 v[94:95], v[80:81], s[2:3], -v[94:95]
	v_mul_f64 v[98:99], v[16:17], s[40:41]
	v_add_f64 v[92:93], v[92:93], v[100:101]
	v_add_f64 v[94:95], v[94:95], v[102:103]
	v_fma_f64 v[100:101], v[76:77], s[34:35], -v[98:99]
	v_mul_f64 v[102:103], v[20:21], s[40:41]
	v_fmac_f64_e32 v[98:99], s[34:35], v[76:77]
	v_add_f64 v[96:97], v[96:97], v[106:107]
	v_fma_f64 v[106:107], s[34:35], v[80:81], v[102:103]
	v_add_f64 v[98:99], v[98:99], v[104:105]
	v_mul_f64 v[104:105], v[16:17], s[18:19]
	v_add_f64 v[100:101], v[100:101], v[108:109]
	v_add_f64 v[108:109], v[106:107], v[114:115]
	v_fma_f64 v[102:103], v[80:81], s[34:35], -v[102:103]
	v_fma_f64 v[106:107], v[76:77], s[16:17], -v[104:105]
	v_add_f64 v[146:147], v[146:147], v[154:155]
	v_add_f64 v[134:135], v[134:135], v[142:143]
	v_add_f64 v[102:103], v[102:103], v[110:111]
	v_add_f64 v[110:111], v[106:107], v[120:121]
	v_mul_f64 v[106:107], v[20:21], s[18:19]
	v_fmac_f64_e32 v[104:105], s[16:17], v[76:77]
	v_add_f64 v[148:149], v[152:153], v[148:149]
	v_add_f64 v[144:145], v[144:145], v[150:151]
	;; [unrolled: 1-line block ×5, first 2 shown]
	v_fma_f64 v[104:105], v[80:81], s[16:17], -v[106:107]
	v_mul_f64 v[16:17], v[16:17], s[22:23]
	v_add_f64 v[146:147], v[0:1], -v[2:3]
	v_add_f64 v[138:139], v[138:139], v[148:149]
	v_add_f64 v[136:137], v[136:137], v[144:145]
	;; [unrolled: 1-line block ×4, first 2 shown]
	v_fma_f64 v[104:105], v[76:77], s[20:21], -v[16:17]
	v_mul_f64 v[20:21], v[20:21], s[22:23]
	v_fmac_f64_e32 v[16:17], s[20:21], v[76:77]
	v_add_f64 v[140:141], v[12:13], v[14:15]
	v_add_f64 v[144:145], v[12:13], -v[14:15]
	v_mul_f64 v[12:13], v[146:147], s[36:37]
	v_add_f64 v[130:131], v[130:131], v[138:139]
	v_add_f64 v[124:125], v[124:125], v[136:137]
	v_fma_f64 v[114:115], s[16:17], v[80:81], v[106:107]
	v_add_f64 v[138:139], v[16:17], v[72:73]
	v_fma_f64 v[16:17], v[80:81], s[20:21], -v[20:21]
	v_add_f64 v[142:143], v[0:1], v[2:3]
	v_fma_f64 v[0:1], v[140:141], s[34:35], -v[12:13]
	v_mul_f64 v[14:15], v[144:145], s[36:37]
	v_fmac_f64_e32 v[12:13], s[34:35], v[140:141]
	v_add_f64 v[114:115], v[114:115], v[130:131]
	v_add_f64 v[122:123], v[104:105], v[124:125]
	v_fma_f64 v[104:105], s[20:21], v[80:81], v[20:21]
	v_add_f64 v[6:7], v[16:17], v[6:7]
	v_add_f64 v[130:131], v[12:13], v[18:19]
	v_fma_f64 v[12:13], v[142:143], s[34:35], -v[14:15]
	v_mul_f64 v[16:17], v[146:147], s[18:19]
	v_add_f64 v[124:125], v[104:105], v[132:133]
	v_add_f64 v[132:133], v[12:13], v[74:75]
	v_fma_f64 v[12:13], v[140:141], s[16:17], -v[16:17]
	v_mul_f64 v[18:19], v[144:145], s[18:19]
	v_fmac_f64_e32 v[16:17], s[16:17], v[140:141]
	v_add_f64 v[134:135], v[16:17], v[78:79]
	v_fma_f64 v[16:17], v[142:143], s[16:17], -v[18:19]
	v_mul_f64 v[20:21], v[146:147], s[26:27]
	v_add_f64 v[0:1], v[0:1], v[22:23]
	v_fma_f64 v[2:3], s[34:35], v[142:143], v[14:15]
	v_fma_f64 v[14:15], s[16:17], v[142:143], v[18:19]
	v_add_f64 v[136:137], v[16:17], v[86:87]
	v_fma_f64 v[16:17], v[140:141], s[24:25], -v[20:21]
	v_mul_f64 v[22:23], v[144:145], s[26:27]
	v_fmac_f64_e32 v[20:21], s[24:25], v[140:141]
	v_add_f64 v[12:13], v[12:13], v[82:83]
	v_add_f64 v[14:15], v[14:15], v[90:91]
	;; [unrolled: 1-line block ×3, first 2 shown]
	v_fma_f64 v[20:21], v[142:143], s[24:25], -v[22:23]
	v_mul_f64 v[72:73], v[146:147], s[38:39]
	v_mul_f64 v[74:75], v[144:145], s[38:39]
	;; [unrolled: 1-line block ×6, first 2 shown]
	v_accvgpr_write_b32 a46, v160
	v_add_f64 v[10:11], v[10:11], v[156:157]
	v_add_f64 v[2:3], v[2:3], v[84:85]
	v_fma_f64 v[18:19], s[24:25], v[142:143], v[22:23]
	v_add_f64 v[106:107], v[20:21], v[94:95]
	v_fma_f64 v[20:21], v[140:141], s[2:3], -v[72:73]
	v_fma_f64 v[22:23], s[2:3], v[142:143], v[74:75]
	v_fmac_f64_e32 v[72:73], s[2:3], v[140:141]
	v_fma_f64 v[74:75], v[142:143], s[2:3], -v[74:75]
	v_fma_f64 v[76:77], v[140:141], s[20:21], -v[80:81]
	v_fma_f64 v[78:79], s[20:21], v[142:143], v[82:83]
	v_fmac_f64_e32 v[80:81], s[20:21], v[140:141]
	v_fma_f64 v[82:83], v[142:143], s[20:21], -v[82:83]
	;; [unrolled: 4-line block ×3, first 2 shown]
	v_accvgpr_write_b32 a47, v161
	v_accvgpr_write_b32 a48, v162
	;; [unrolled: 1-line block ×3, first 2 shown]
	v_add_f64 v[16:17], v[16:17], v[92:93]
	v_add_f64 v[18:19], v[18:19], v[96:97]
	;; [unrolled: 1-line block ×14, first 2 shown]
	ds_write_b128 v193, v[8:11]
	ds_write_b128 v193, v[0:3] offset:272
	ds_write_b128 v193, v[12:15] offset:544
	;; [unrolled: 1-line block ×12, first 2 shown]
	s_waitcnt lgkmcnt(0)
	s_barrier
	ds_read_b128 v[108:111], v192
	ds_read_b128 v[112:115], v192 offset:1360
	ds_read_b128 v[150:153], v192 offset:3536
	;; [unrolled: 1-line block ×9, first 2 shown]
	v_accvgpr_write_b32 a45, v31
	v_accvgpr_write_b32 a41, v27
	;; [unrolled: 1-line block ×8, first 2 shown]
	v_cmp_gt_u16_e64 s[2:3], 51, v198
	s_and_saveexec_b64 s[0:1], s[2:3]
	s_cbranch_execz .LBB0_9
; %bb.8:
	ds_read_b128 v[104:107], v192 offset:2720
	ds_read_b128 v[134:137], v192 offset:6256
	;; [unrolled: 1-line block ×5, first 2 shown]
.LBB0_9:
	s_or_b64 exec, exec, s[0:1]
	v_lshlrev_b32_e32 v0, 6, v198
	s_movk_i32 s16, 0xffcd
	global_load_dwordx4 v[84:87], v0, s[6:7] offset:3264
	global_load_dwordx4 v[80:83], v0, s[6:7] offset:3280
	;; [unrolled: 1-line block ×4, first 2 shown]
	v_add_u32_e32 v0, 0x1540, v0
	s_mov_b64 s[0:1], 0xaa
	s_mov_b32 s17, -1
	global_load_dwordx4 v[100:103], v0, s[6:7] offset:3264
	global_load_dwordx4 v[96:99], v0, s[6:7] offset:3280
	;; [unrolled: 1-line block ×4, first 2 shown]
	v_lshl_add_u64 v[0:1], v[198:199], 0, s[0:1]
	v_lshl_add_u64 v[2:3], v[198:199], 0, s[16:17]
	v_cndmask_b32_e64 v1, v3, v1, s[2:3]
	v_cndmask_b32_e64 v0, v2, v0, s[2:3]
	v_lshlrev_b64 v[0:1], 6, v[0:1]
	v_lshl_add_u64 v[0:1], s[6:7], 0, v[0:1]
	global_load_dwordx4 v[212:215], v[0:1], off offset:3264
	global_load_dwordx4 v[28:31], v[0:1], off offset:3280
	;; [unrolled: 1-line block ×4, first 2 shown]
	s_mov_b32 s6, 0x134454ff
	s_mov_b32 s7, 0x3fee6f0e
	;; [unrolled: 1-line block ×10, first 2 shown]
	v_lshl_add_u32 v196, v198, 4, v202
	v_add_u32_e32 v197, v194, v202
	s_waitcnt vmcnt(11) lgkmcnt(7)
	v_mul_f64 v[0:1], v[152:153], v[86:87]
	s_waitcnt vmcnt(10) lgkmcnt(5)
	v_mul_f64 v[2:3], v[156:157], v[82:83]
	;; [unrolled: 2-line block ×3, first 2 shown]
	v_mul_f64 v[4:5], v[150:151], v[86:87]
	v_mul_f64 v[12:13], v[158:159], v[78:79]
	s_waitcnt vmcnt(8) lgkmcnt(1)
	v_mul_f64 v[10:11], v[164:165], v[74:75]
	v_mul_f64 v[14:15], v[162:163], v[74:75]
	v_fma_f64 v[16:17], v[150:151], v[84:85], -v[0:1]
	v_fma_f64 v[18:19], v[154:155], v[80:81], -v[2:3]
	;; [unrolled: 1-line block ×3, first 2 shown]
	s_waitcnt vmcnt(7)
	v_mul_f64 v[0:1], v[122:123], v[102:103]
	s_waitcnt vmcnt(6)
	v_mul_f64 v[2:3], v[140:141], v[98:99]
	v_mul_f64 v[6:7], v[154:155], v[82:83]
	v_fmac_f64_e32 v[4:5], v[152:153], v[84:85]
	v_fmac_f64_e32 v[12:13], v[160:161], v[76:77]
	v_fma_f64 v[22:23], v[162:163], v[72:73], -v[10:11]
	v_fmac_f64_e32 v[14:15], v[164:165], v[72:73]
	v_mul_f64 v[150:151], v[120:121], v[102:103]
	s_waitcnt vmcnt(4) lgkmcnt(0)
	v_mul_f64 v[10:11], v[148:149], v[90:91]
	v_fma_f64 v[158:159], v[120:121], v[100:101], -v[0:1]
	v_fma_f64 v[160:161], v[138:139], v[96:97], -v[2:3]
	v_add_f64 v[0:1], v[108:109], v[16:17]
	v_add_f64 v[2:3], v[18:19], v[20:21]
	v_fmac_f64_e32 v[6:7], v[156:157], v[80:81]
	v_mul_f64 v[152:153], v[138:139], v[98:99]
	v_mul_f64 v[8:9], v[144:145], v[94:95]
	v_fmac_f64_e32 v[150:151], v[122:123], v[100:101]
	v_fma_f64 v[138:139], v[146:147], v[88:89], -v[10:11]
	v_add_f64 v[122:123], v[4:5], -v[14:15]
	v_add_f64 v[120:121], v[0:1], v[18:19]
	v_fma_f64 v[124:125], -0.5, v[2:3], v[108:109]
	s_waitcnt vmcnt(0)
	v_mul_f64 v[10:11], v[116:117], v[210:211]
	v_mul_f64 v[154:155], v[142:143], v[94:95]
	v_fmac_f64_e32 v[152:153], v[140:141], v[96:97]
	v_fma_f64 v[162:163], v[142:143], v[92:93], -v[8:9]
	v_add_f64 v[140:141], v[6:7], -v[12:13]
	v_add_f64 v[142:143], v[16:17], -v[18:19]
	v_mul_f64 v[164:165], v[118:119], v[210:211]
	v_add_f64 v[166:167], v[120:121], v[20:21]
	v_fma_f64 v[120:121], s[6:7], v[122:123], v[124:125]
	v_fmac_f64_e32 v[10:11], v[118:119], v[208:209]
	v_add_f64 v[118:119], v[22:23], -v[20:21]
	v_fmac_f64_e32 v[124:125], s[18:19], v[122:123]
	v_fmac_f64_e32 v[120:121], s[0:1], v[140:141]
	v_add_f64 v[118:119], v[142:143], v[118:119]
	v_fmac_f64_e32 v[124:125], s[20:21], v[140:141]
	v_fmac_f64_e32 v[120:121], s[16:17], v[118:119]
	;; [unrolled: 1-line block ×3, first 2 shown]
	v_add_f64 v[118:119], v[16:17], v[22:23]
	v_mul_f64 v[156:157], v[146:147], v[90:91]
	v_mul_f64 v[8:9], v[126:127], v[26:27]
	v_fmac_f64_e32 v[108:109], -0.5, v[118:119]
	v_fmac_f64_e32 v[156:157], v[148:149], v[88:89]
	v_mul_f64 v[148:149], v[128:129], v[26:27]
	v_fmac_f64_e32 v[8:9], v[128:129], v[24:25]
	v_fma_f64 v[128:129], s[18:19], v[140:141], v[108:109]
	v_fmac_f64_e32 v[108:109], s[6:7], v[140:141]
	v_fma_f64 v[172:173], v[126:127], v[24:25], -v[148:149]
	v_fmac_f64_e32 v[128:129], s[0:1], v[122:123]
	v_add_f64 v[118:119], v[18:19], -v[16:17]
	v_add_f64 v[126:127], v[20:21], -v[22:23]
	v_fmac_f64_e32 v[108:109], s[20:21], v[122:123]
	v_add_f64 v[122:123], v[6:7], v[12:13]
	v_add_f64 v[118:119], v[118:119], v[126:127]
	v_fma_f64 v[126:127], -0.5, v[122:123], v[110:111]
	v_add_f64 v[16:17], v[16:17], -v[22:23]
	v_fma_f64 v[164:165], v[116:117], v[208:209], -v[164:165]
	v_add_f64 v[116:117], v[166:167], v[22:23]
	v_fma_f64 v[122:123], s[18:19], v[16:17], v[126:127]
	v_add_f64 v[18:19], v[18:19], -v[20:21]
	v_add_f64 v[20:21], v[4:5], -v[6:7]
	;; [unrolled: 1-line block ×3, first 2 shown]
	v_fmac_f64_e32 v[126:127], s[6:7], v[16:17]
	v_fmac_f64_e32 v[122:123], s[20:21], v[18:19]
	v_add_f64 v[20:21], v[20:21], v[22:23]
	v_fmac_f64_e32 v[126:127], s[0:1], v[18:19]
	v_fmac_f64_e32 v[122:123], s[16:17], v[20:21]
	;; [unrolled: 1-line block ×3, first 2 shown]
	v_add_f64 v[20:21], v[4:5], v[14:15]
	v_mul_f64 v[146:147], v[132:133], v[30:31]
	v_fmac_f64_e32 v[128:129], s[16:17], v[118:119]
	v_fmac_f64_e32 v[108:109], s[16:17], v[118:119]
	v_add_f64 v[118:119], v[110:111], v[4:5]
	v_fmac_f64_e32 v[110:111], -0.5, v[20:21]
	v_mul_f64 v[2:3], v[130:131], v[30:31]
	v_fma_f64 v[170:171], v[130:131], v[28:29], -v[146:147]
	v_add_f64 v[118:119], v[118:119], v[6:7]
	v_fma_f64 v[130:131], s[6:7], v[18:19], v[110:111]
	v_add_f64 v[4:5], v[6:7], -v[4:5]
	v_add_f64 v[6:7], v[12:13], -v[14:15]
	v_fmac_f64_e32 v[110:111], s[18:19], v[18:19]
	v_fmac_f64_e32 v[130:131], s[20:21], v[16:17]
	v_add_f64 v[4:5], v[4:5], v[6:7]
	v_fmac_f64_e32 v[110:111], s[0:1], v[16:17]
	v_fmac_f64_e32 v[130:131], s[16:17], v[4:5]
	;; [unrolled: 1-line block ×3, first 2 shown]
	v_add_f64 v[4:5], v[112:113], v[158:159]
	v_add_f64 v[4:5], v[4:5], v[160:161]
	;; [unrolled: 1-line block ×3, first 2 shown]
	v_fmac_f64_e32 v[2:3], v[132:133], v[28:29]
	v_add_f64 v[132:133], v[4:5], v[138:139]
	v_add_f64 v[4:5], v[160:161], v[162:163]
	v_fmac_f64_e32 v[154:155], v[144:145], v[92:93]
	v_mul_f64 v[0:1], v[134:135], v[214:215]
	v_add_f64 v[118:119], v[118:119], v[12:13]
	v_fma_f64 v[140:141], -0.5, v[4:5], v[112:113]
	v_add_f64 v[4:5], v[150:151], -v[156:157]
	v_mul_f64 v[144:145], v[136:137], v[214:215]
	v_fmac_f64_e32 v[0:1], v[136:137], v[212:213]
	v_add_f64 v[118:119], v[118:119], v[14:15]
	v_fma_f64 v[136:137], s[6:7], v[4:5], v[140:141]
	v_add_f64 v[6:7], v[152:153], -v[154:155]
	v_add_f64 v[12:13], v[158:159], -v[160:161]
	;; [unrolled: 1-line block ×3, first 2 shown]
	v_fmac_f64_e32 v[140:141], s[18:19], v[4:5]
	v_fmac_f64_e32 v[136:137], s[0:1], v[6:7]
	v_add_f64 v[12:13], v[12:13], v[14:15]
	v_fmac_f64_e32 v[140:141], s[20:21], v[6:7]
	v_fmac_f64_e32 v[136:137], s[16:17], v[12:13]
	;; [unrolled: 1-line block ×3, first 2 shown]
	v_add_f64 v[12:13], v[158:159], v[138:139]
	v_fmac_f64_e32 v[112:113], -0.5, v[12:13]
	v_fma_f64 v[168:169], v[134:135], v[212:213], -v[144:145]
	v_fma_f64 v[144:145], s[18:19], v[6:7], v[112:113]
	v_fmac_f64_e32 v[112:113], s[6:7], v[6:7]
	v_fmac_f64_e32 v[144:145], s[0:1], v[4:5]
	v_fmac_f64_e32 v[112:113], s[20:21], v[4:5]
	v_add_f64 v[4:5], v[114:115], v[150:151]
	v_add_f64 v[4:5], v[4:5], v[152:153]
	v_add_f64 v[4:5], v[4:5], v[154:155]
	v_add_f64 v[12:13], v[160:161], -v[158:159]
	v_add_f64 v[14:15], v[162:163], -v[138:139]
	v_add_f64 v[134:135], v[4:5], v[156:157]
	v_add_f64 v[4:5], v[152:153], v[154:155]
	v_add_f64 v[12:13], v[12:13], v[14:15]
	v_fma_f64 v[142:143], -0.5, v[4:5], v[114:115]
	v_add_f64 v[4:5], v[158:159], -v[138:139]
	v_fmac_f64_e32 v[144:145], s[16:17], v[12:13]
	v_fmac_f64_e32 v[112:113], s[16:17], v[12:13]
	v_fma_f64 v[138:139], s[18:19], v[4:5], v[142:143]
	v_add_f64 v[6:7], v[160:161], -v[162:163]
	v_add_f64 v[12:13], v[150:151], -v[152:153]
	v_add_f64 v[14:15], v[156:157], -v[154:155]
	v_fmac_f64_e32 v[142:143], s[6:7], v[4:5]
	v_fmac_f64_e32 v[138:139], s[20:21], v[6:7]
	v_add_f64 v[12:13], v[12:13], v[14:15]
	v_fmac_f64_e32 v[142:143], s[0:1], v[6:7]
	v_fmac_f64_e32 v[138:139], s[16:17], v[12:13]
	v_fmac_f64_e32 v[142:143], s[16:17], v[12:13]
	v_add_f64 v[12:13], v[150:151], v[156:157]
	v_fmac_f64_e32 v[114:115], -0.5, v[12:13]
	v_fma_f64 v[146:147], s[6:7], v[6:7], v[114:115]
	v_fmac_f64_e32 v[114:115], s[18:19], v[6:7]
	v_fmac_f64_e32 v[146:147], s[20:21], v[4:5]
	v_fmac_f64_e32 v[114:115], s[0:1], v[4:5]
	v_add_f64 v[4:5], v[104:105], v[168:169]
	v_add_f64 v[4:5], v[4:5], v[170:171]
	v_add_f64 v[4:5], v[4:5], v[172:173]
	v_add_f64 v[12:13], v[152:153], -v[150:151]
	v_add_f64 v[14:15], v[154:155], -v[156:157]
	v_add_f64 v[148:149], v[4:5], v[164:165]
	v_add_f64 v[4:5], v[170:171], v[172:173]
	v_add_f64 v[12:13], v[12:13], v[14:15]
	v_fma_f64 v[156:157], -0.5, v[4:5], v[104:105]
	v_add_f64 v[4:5], v[0:1], -v[10:11]
	v_fmac_f64_e32 v[146:147], s[16:17], v[12:13]
	v_fmac_f64_e32 v[114:115], s[16:17], v[12:13]
	v_fma_f64 v[152:153], s[6:7], v[4:5], v[156:157]
	v_add_f64 v[6:7], v[2:3], -v[8:9]
	v_add_f64 v[12:13], v[168:169], -v[170:171]
	v_add_f64 v[14:15], v[164:165], -v[172:173]
	v_fmac_f64_e32 v[156:157], s[18:19], v[4:5]
	v_fmac_f64_e32 v[152:153], s[0:1], v[6:7]
	v_add_f64 v[12:13], v[12:13], v[14:15]
	v_fmac_f64_e32 v[156:157], s[20:21], v[6:7]
	v_fmac_f64_e32 v[152:153], s[16:17], v[12:13]
	v_fmac_f64_e32 v[156:157], s[16:17], v[12:13]
	v_add_f64 v[12:13], v[168:169], v[164:165]
	v_fmac_f64_e32 v[104:105], -0.5, v[12:13]
	;; [unrolled: 28-line block ×3, first 2 shown]
	v_fma_f64 v[162:163], s[6:7], v[6:7], v[106:107]
	v_add_f64 v[0:1], v[2:3], -v[0:1]
	v_add_f64 v[2:3], v[8:9], -v[10:11]
	v_fmac_f64_e32 v[106:107], s[18:19], v[6:7]
	v_accvgpr_write_b32 a18, v28
	v_accvgpr_write_b32 a14, v24
	v_fmac_f64_e32 v[162:163], s[20:21], v[4:5]
	v_add_f64 v[0:1], v[0:1], v[2:3]
	v_fmac_f64_e32 v[106:107], s[0:1], v[4:5]
	v_accvgpr_write_b32 a19, v29
	v_accvgpr_write_b32 a20, v30
	;; [unrolled: 1-line block ×6, first 2 shown]
	v_fmac_f64_e32 v[162:163], s[16:17], v[0:1]
	v_fmac_f64_e32 v[106:107], s[16:17], v[0:1]
	ds_write_b128 v196, v[116:119]
	ds_write_b128 v196, v[120:123] offset:3536
	ds_write_b128 v196, v[128:131] offset:7072
	;; [unrolled: 1-line block ×9, first 2 shown]
	s_mov_b64 s[0:1], exec
	v_accvgpr_read_b32 v27, a13
	s_and_b64 s[6:7], s[0:1], s[2:3]
	v_accvgpr_read_b32 v26, a12
	v_accvgpr_read_b32 v25, a11
	;; [unrolled: 1-line block ×3, first 2 shown]
	s_mov_b64 exec, s[6:7]
	s_cbranch_execz .LBB0_11
; %bb.10:
	ds_write_b128 v196, v[148:151] offset:2720
	ds_write_b128 v196, v[152:155] offset:6256
	;; [unrolled: 1-line block ×5, first 2 shown]
.LBB0_11:
	s_or_b64 exec, exec, s[0:1]
	s_waitcnt lgkmcnt(0)
	s_barrier
	s_and_saveexec_b64 s[0:1], s[4:5]
	s_cbranch_execz .LBB0_13
; %bb.12:
	v_mov_b32_e32 v195, 0
	v_lshl_add_u64 v[8:9], s[12:13], 0, v[194:195]
	v_add_co_u32_e32 v4, vcc, 0x4000, v8
	ds_read_b128 v[0:3], v196
	ds_read_b128 v[164:167], v196 offset:16640
	v_addc_co_u32_e32 v5, vcc, 0, v9, vcc
	global_load_dwordx4 v[4:7], v[4:5], off offset:1296
	s_mov_b64 s[6:7], 0x4510
	v_lshl_add_u64 v[14:15], v[8:9], 0, s[6:7]
	s_movk_i32 s6, 0x5000
	s_waitcnt vmcnt(0) lgkmcnt(1)
	v_mul_f64 v[10:11], v[2:3], v[6:7]
	v_mul_f64 v[12:13], v[0:1], v[6:7]
	v_fma_f64 v[10:11], v[0:1], v[4:5], -v[10:11]
	v_fmac_f64_e32 v[12:13], v[2:3], v[4:5]
	global_load_dwordx4 v[4:7], v[14:15], off offset:1040
	ds_read_b128 v[0:3], v196 offset:1040
	ds_write_b128 v196, v[10:13]
	s_waitcnt vmcnt(0) lgkmcnt(1)
	v_mul_f64 v[10:11], v[2:3], v[6:7]
	v_mul_f64 v[12:13], v[0:1], v[6:7]
	v_fma_f64 v[10:11], v[0:1], v[4:5], -v[10:11]
	v_fmac_f64_e32 v[12:13], v[2:3], v[4:5]
	global_load_dwordx4 v[4:7], v[14:15], off offset:2080
	ds_read_b128 v[0:3], v196 offset:2080
	ds_write_b128 v196, v[10:13] offset:1040
	s_waitcnt vmcnt(0) lgkmcnt(1)
	v_mul_f64 v[10:11], v[2:3], v[6:7]
	v_mul_f64 v[12:13], v[0:1], v[6:7]
	v_fma_f64 v[10:11], v[0:1], v[4:5], -v[10:11]
	v_fmac_f64_e32 v[12:13], v[2:3], v[4:5]
	global_load_dwordx4 v[4:7], v[14:15], off offset:3120
	ds_read_b128 v[0:3], v196 offset:3120
	v_add_co_u32_e32 v14, vcc, s6, v8
	ds_write_b128 v196, v[10:13] offset:2080
	s_nop 0
	v_addc_co_u32_e32 v15, vcc, 0, v9, vcc
	s_movk_i32 s6, 0x6000
	s_waitcnt vmcnt(0) lgkmcnt(1)
	v_mul_f64 v[10:11], v[2:3], v[6:7]
	v_mul_f64 v[12:13], v[0:1], v[6:7]
	v_fma_f64 v[10:11], v[0:1], v[4:5], -v[10:11]
	v_fmac_f64_e32 v[12:13], v[2:3], v[4:5]
	global_load_dwordx4 v[4:7], v[14:15], off offset:1360
	ds_read_b128 v[0:3], v196 offset:4160
	ds_write_b128 v196, v[10:13] offset:3120
	s_waitcnt vmcnt(0) lgkmcnt(1)
	v_mul_f64 v[10:11], v[2:3], v[6:7]
	v_mul_f64 v[12:13], v[0:1], v[6:7]
	v_fma_f64 v[10:11], v[0:1], v[4:5], -v[10:11]
	v_fmac_f64_e32 v[12:13], v[2:3], v[4:5]
	global_load_dwordx4 v[4:7], v[14:15], off offset:2400
	ds_read_b128 v[0:3], v196 offset:5200
	ds_write_b128 v196, v[10:13] offset:4160
	s_waitcnt vmcnt(0) lgkmcnt(1)
	v_mul_f64 v[10:11], v[2:3], v[6:7]
	v_mul_f64 v[12:13], v[0:1], v[6:7]
	v_fma_f64 v[10:11], v[0:1], v[4:5], -v[10:11]
	v_fmac_f64_e32 v[12:13], v[2:3], v[4:5]
	global_load_dwordx4 v[4:7], v[14:15], off offset:3440
	ds_read_b128 v[0:3], v196 offset:6240
	v_add_co_u32_e32 v14, vcc, s6, v8
	ds_write_b128 v196, v[10:13] offset:5200
	s_nop 0
	v_addc_co_u32_e32 v15, vcc, 0, v9, vcc
	s_movk_i32 s6, 0x7000
	s_waitcnt vmcnt(0) lgkmcnt(1)
	v_mul_f64 v[10:11], v[2:3], v[6:7]
	v_mul_f64 v[12:13], v[0:1], v[6:7]
	v_fma_f64 v[10:11], v[0:1], v[4:5], -v[10:11]
	v_fmac_f64_e32 v[12:13], v[2:3], v[4:5]
	global_load_dwordx4 v[4:7], v[14:15], off offset:384
	ds_read_b128 v[0:3], v196 offset:7280
	ds_write_b128 v196, v[10:13] offset:6240
	s_waitcnt vmcnt(0) lgkmcnt(1)
	v_mul_f64 v[10:11], v[2:3], v[6:7]
	v_mul_f64 v[12:13], v[0:1], v[6:7]
	v_fma_f64 v[10:11], v[0:1], v[4:5], -v[10:11]
	v_fmac_f64_e32 v[12:13], v[2:3], v[4:5]
	global_load_dwordx4 v[4:7], v[14:15], off offset:1424
	ds_read_b128 v[0:3], v196 offset:8320
	ds_write_b128 v196, v[10:13] offset:7280
	;; [unrolled: 8-line block ×3, first 2 shown]
	s_waitcnt vmcnt(0) lgkmcnt(1)
	v_mul_f64 v[10:11], v[2:3], v[6:7]
	v_mul_f64 v[12:13], v[0:1], v[6:7]
	v_fma_f64 v[10:11], v[0:1], v[4:5], -v[10:11]
	v_fmac_f64_e32 v[12:13], v[2:3], v[4:5]
	global_load_dwordx4 v[4:7], v[14:15], off offset:3504
	ds_read_b128 v[0:3], v196 offset:10400
	v_add_co_u32_e32 v14, vcc, s6, v8
	ds_write_b128 v196, v[10:13] offset:9360
	s_nop 0
	v_addc_co_u32_e32 v15, vcc, 0, v9, vcc
	s_mov_b32 s6, 0x8000
	s_waitcnt vmcnt(0) lgkmcnt(1)
	v_mul_f64 v[10:11], v[2:3], v[6:7]
	v_mul_f64 v[12:13], v[0:1], v[6:7]
	v_fma_f64 v[10:11], v[0:1], v[4:5], -v[10:11]
	v_fmac_f64_e32 v[12:13], v[2:3], v[4:5]
	global_load_dwordx4 v[4:7], v[14:15], off offset:448
	ds_read_b128 v[0:3], v196 offset:11440
	ds_write_b128 v196, v[10:13] offset:10400
	s_waitcnt vmcnt(0) lgkmcnt(1)
	v_mul_f64 v[10:11], v[2:3], v[6:7]
	v_mul_f64 v[12:13], v[0:1], v[6:7]
	v_fma_f64 v[10:11], v[0:1], v[4:5], -v[10:11]
	v_fmac_f64_e32 v[12:13], v[2:3], v[4:5]
	global_load_dwordx4 v[4:7], v[14:15], off offset:1488
	ds_read_b128 v[0:3], v196 offset:12480
	ds_write_b128 v196, v[10:13] offset:11440
	;; [unrolled: 8-line block ×4, first 2 shown]
	s_waitcnt vmcnt(0) lgkmcnt(1)
	v_mul_f64 v[10:11], v[2:3], v[6:7]
	v_mul_f64 v[12:13], v[0:1], v[6:7]
	v_fma_f64 v[10:11], v[0:1], v[4:5], -v[10:11]
	v_fmac_f64_e32 v[12:13], v[2:3], v[4:5]
	ds_write_b128 v196, v[10:13] offset:14560
	v_add_co_u32_e32 v12, vcc, s6, v8
	ds_read_b128 v[0:3], v196 offset:15600
	s_nop 0
	v_addc_co_u32_e32 v13, vcc, 0, v9, vcc
	global_load_dwordx4 v[4:7], v[12:13], off offset:512
	global_load_dwordx4 v[168:171], v[12:13], off offset:1552
	s_waitcnt vmcnt(1) lgkmcnt(0)
	v_mul_f64 v[8:9], v[2:3], v[6:7]
	v_mul_f64 v[10:11], v[0:1], v[6:7]
	v_fma_f64 v[8:9], v[0:1], v[4:5], -v[8:9]
	v_fmac_f64_e32 v[10:11], v[2:3], v[4:5]
	s_waitcnt vmcnt(0)
	v_mul_f64 v[0:1], v[166:167], v[170:171]
	v_mul_f64 v[2:3], v[164:165], v[170:171]
	v_fma_f64 v[0:1], v[164:165], v[168:169], -v[0:1]
	v_fmac_f64_e32 v[2:3], v[166:167], v[168:169]
	ds_write_b128 v196, v[8:11] offset:15600
	ds_write_b128 v196, v[0:3] offset:16640
.LBB0_13:
	s_or_b64 exec, exec, s[0:1]
	s_waitcnt lgkmcnt(0)
	s_barrier
	s_and_saveexec_b64 s[0:1], s[4:5]
	s_cbranch_execz .LBB0_15
; %bb.14:
	ds_read_b128 v[116:119], v196
	ds_read_b128 v[120:123], v196 offset:1040
	ds_read_b128 v[128:131], v196 offset:2080
	;; [unrolled: 1-line block ×16, first 2 shown]
.LBB0_15:
	s_or_b64 exec, exec, s[0:1]
	s_mov_b32 s18, 0x7c9e640b
	s_waitcnt lgkmcnt(0)
	v_add_f64 v[228:229], v[122:123], -v[206:207]
	s_mov_b32 s19, 0xbfeca52d
	s_mov_b32 s0, 0x2b2883cd
	v_mul_f64 v[0:1], v[228:229], s[18:19]
	s_mov_b32 s28, 0x6c9a05f6
	v_add_f64 v[222:223], v[120:121], v[204:205]
	v_add_f64 v[224:225], v[122:123], v[206:207]
	s_mov_b32 s1, 0x3fdc86fa
	v_accvgpr_write_b32 a31, v1
	v_add_f64 v[236:237], v[130:131], -v[26:27]
	s_mov_b32 s16, 0x6ed5f1bb
	s_mov_b32 s29, 0xbfe9895b
	v_add_f64 v[232:233], v[120:121], -v[204:205]
	v_mul_f64 v[46:47], v[224:225], s[0:1]
	v_accvgpr_write_b32 a30, v0
	v_fma_f64 v[0:1], v[222:223], s[0:1], -v[0:1]
	v_add_f64 v[226:227], v[128:129], v[24:25]
	v_add_f64 v[230:231], v[130:131], v[26:27]
	s_mov_b32 s17, 0xbfe348c8
	v_mul_f64 v[12:13], v[236:237], s[28:29]
	v_add_f64 v[0:1], v[116:117], v[0:1]
	v_fma_f64 v[2:3], s[18:19], v[232:233], v[46:47]
	s_mov_b32 s6, 0x3259b75e
	s_mov_b32 s22, 0xeb564b22
	v_add_f64 v[242:243], v[128:129], -v[24:25]
	v_mul_f64 v[20:21], v[230:231], s[16:17]
	v_fma_f64 v[8:9], v[226:227], s[16:17], -v[12:13]
	s_mov_b32 s34, 0xacd6c6b4
	v_add_f64 v[2:3], v[118:119], v[2:3]
	s_mov_b32 s7, 0x3fb79ee6
	s_mov_b32 s23, 0xbfefdd0d
	v_add_f64 v[0:1], v[8:9], v[0:1]
	v_fma_f64 v[8:9], s[28:29], v[242:243], v[20:21]
	s_mov_b32 s35, 0xbfc7851a
	v_mul_f64 v[28:29], v[228:229], s[22:23]
	v_mul_f64 v[6:7], v[224:225], s[6:7]
	v_add_f64 v[2:3], v[8:9], v[2:3]
	s_mov_b32 s20, 0x7faef3
	v_mul_f64 v[8:9], v[236:237], s[34:35]
	v_fma_f64 v[4:5], v[222:223], s[6:7], -v[28:29]
	v_accvgpr_write_b32 a25, v7
	s_mov_b32 s21, 0xbfef7484
	v_accvgpr_write_b32 a23, v9
	v_add_f64 v[4:5], v[116:117], v[4:5]
	v_accvgpr_write_b32 a24, v6
	v_fma_f64 v[6:7], s[22:23], v[232:233], v[6:7]
	v_mul_f64 v[10:11], v[230:231], s[20:21]
	v_accvgpr_write_b32 a22, v8
	v_fma_f64 v[8:9], v[226:227], s[20:21], -v[8:9]
	v_add_f64 v[244:245], v[110:111], -v[158:159]
	s_mov_b32 s51, 0x3fc7851a
	s_mov_b32 s50, s34
	v_add_f64 v[6:7], v[118:119], v[6:7]
	v_add_f64 v[4:5], v[8:9], v[4:5]
	v_fma_f64 v[8:9], s[34:35], v[242:243], v[10:11]
	v_add_f64 v[234:235], v[108:109], v[156:157]
	v_add_f64 v[238:239], v[110:111], v[158:159]
	v_mul_f64 v[22:23], v[244:245], s[50:51]
	v_add_f64 v[6:7], v[8:9], v[6:7]
	v_add_f64 v[250:251], v[108:109], -v[156:157]
	v_mul_f64 v[30:31], v[238:239], s[20:21]
	v_fma_f64 v[8:9], v[234:235], s[20:21], -v[22:23]
	s_mov_b32 s44, 0x923c349f
	v_add_f64 v[0:1], v[8:9], v[0:1]
	v_fma_f64 v[8:9], s[50:51], v[250:251], v[30:31]
	s_mov_b32 s45, 0x3feec746
	v_add_f64 v[2:3], v[8:9], v[2:3]
	s_mov_b32 s26, 0xc61f0d01
	v_mul_f64 v[8:9], v[244:245], s[44:45]
	v_accvgpr_write_b32 a29, v11
	s_mov_b32 s27, 0xbfd183b1
	v_accvgpr_write_b32 a27, v9
	v_accvgpr_write_b32 a28, v10
	v_mul_f64 v[10:11], v[238:239], s[26:27]
	v_accvgpr_write_b32 a26, v8
	v_fma_f64 v[8:9], v[234:235], s[26:27], -v[8:9]
	v_add_f64 v[4:5], v[8:9], v[4:5]
	v_fma_f64 v[8:9], s[44:45], v[250:251], v[10:11]
	v_add_f64 v[252:253], v[126:127], -v[106:107]
	v_add_f64 v[6:7], v[8:9], v[6:7]
	v_mul_f64 v[8:9], v[252:253], s[44:45]
	v_accvgpr_write_b32 a73, v11
	v_add_f64 v[240:241], v[124:125], v[104:105]
	v_add_f64 v[246:247], v[126:127], v[106:107]
	v_accvgpr_write_b32 a35, v9
	v_accvgpr_write_b32 a72, v10
	v_add_f64 v[174:175], v[124:125], -v[104:105]
	v_mul_f64 v[10:11], v[246:247], s[26:27]
	v_accvgpr_write_b32 a34, v8
	v_fma_f64 v[8:9], v[240:241], s[26:27], -v[8:9]
	s_mov_b32 s46, 0x5d8e7cdc
	v_add_f64 v[0:1], v[8:9], v[0:1]
	v_fma_f64 v[8:9], s[44:45], v[174:175], v[10:11]
	s_mov_b32 s47, 0x3fd71e95
	v_add_f64 v[2:3], v[8:9], v[2:3]
	s_mov_b32 s30, 0x370991
	v_mul_f64 v[8:9], v[252:253], s[46:47]
	v_accvgpr_write_b32 a37, v11
	s_mov_b32 s31, 0x3fedd6d0
	v_accvgpr_write_b32 a33, v9
	v_accvgpr_write_b32 a36, v10
	v_mul_f64 v[10:11], v[246:247], s[30:31]
	v_accvgpr_write_b32 a32, v8
	v_fma_f64 v[8:9], v[240:241], s[30:31], -v[8:9]
	s_mov_b32 s52, 0x2a9d6da3
	v_add_f64 v[4:5], v[8:9], v[4:5]
	v_fma_f64 v[8:9], s[46:47], v[174:175], v[10:11]
	v_add_f64 v[176:177], v[134:135], -v[162:163]
	s_mov_b32 s53, 0x3fe58eea
	v_add_f64 v[6:7], v[8:9], v[6:7]
	s_mov_b32 s36, 0x75d4884
	v_mul_f64 v[8:9], v[176:177], s[52:53]
	v_add_f64 v[248:249], v[132:133], v[160:161]
	v_add_f64 v[254:255], v[134:135], v[162:163]
	s_mov_b32 s37, 0x3fe7a5f6
	v_accvgpr_write_b32 a71, v9
	v_add_f64 v[180:181], v[132:133], -v[160:161]
	v_mul_f64 v[40:41], v[254:255], s[36:37]
	v_accvgpr_write_b32 a70, v8
	v_fma_f64 v[8:9], v[248:249], s[36:37], -v[8:9]
	v_add_f64 v[0:1], v[8:9], v[0:1]
	v_fma_f64 v[8:9], s[52:53], v[180:181], v[40:41]
	v_add_f64 v[2:3], v[8:9], v[2:3]
	v_mul_f64 v[8:9], v[176:177], s[18:19]
	v_accvgpr_write_b32 a87, v11
	v_accvgpr_write_b32 a75, v9
	;; [unrolled: 1-line block ×3, first 2 shown]
	v_mul_f64 v[10:11], v[254:255], s[0:1]
	v_accvgpr_write_b32 a74, v8
	v_fma_f64 v[8:9], v[248:249], s[0:1], -v[8:9]
	v_add_f64 v[4:5], v[8:9], v[4:5]
	v_fma_f64 v[8:9], s[18:19], v[180:181], v[10:11]
	v_add_f64 v[182:183], v[138:139], -v[154:155]
	s_mov_b32 s41, 0xbfd71e95
	s_mov_b32 s40, s46
	v_accvgpr_write_b32 a91, v11
	v_add_f64 v[8:9], v[8:9], v[6:7]
	v_add_f64 v[172:173], v[136:137], v[152:153]
	;; [unrolled: 1-line block ×3, first 2 shown]
	v_mul_f64 v[6:7], v[182:183], s[40:41]
	v_accvgpr_write_b32 a90, v10
	v_add_f64 v[220:221], v[136:137], -v[152:153]
	v_mul_f64 v[14:15], v[178:179], s[30:31]
	v_fma_f64 v[10:11], v[172:173], s[30:31], -v[6:7]
	s_mov_b32 s42, 0x4363dd80
	v_add_f64 v[10:11], v[10:11], v[0:1]
	v_fma_f64 v[0:1], s[40:41], v[220:221], v[14:15]
	s_mov_b32 s38, 0x910ea3b9
	s_mov_b32 s43, 0xbfe0d888
	v_accvgpr_write_b32 a77, v15
	v_add_f64 v[2:3], v[0:1], v[2:3]
	s_mov_b32 s39, 0xbfeb34fa
	v_mul_f64 v[0:1], v[182:183], s[42:43]
	v_accvgpr_write_b32 a76, v14
	v_mul_f64 v[16:17], v[178:179], s[38:39]
	v_accvgpr_write_b32 a89, v1
	v_fma_f64 v[14:15], v[172:173], s[38:39], -v[0:1]
	v_add_f64 v[188:189], v[146:147], -v[150:151]
	v_accvgpr_write_b32 a88, v0
	v_add_f64 v[14:15], v[14:15], v[4:5]
	v_accvgpr_write_b32 a111, v17
	v_fma_f64 v[4:5], s[42:43], v[220:221], v[16:17]
	v_add_f64 v[218:219], v[144:145], v[148:149]
	v_add_f64 v[184:185], v[146:147], v[150:151]
	v_mul_f64 v[0:1], v[188:189], s[22:23]
	v_accvgpr_write_b32 a110, v16
	v_add_f64 v[16:17], v[4:5], v[8:9]
	v_add_f64 v[8:9], v[144:145], -v[148:149]
	v_mul_f64 v[164:165], v[184:185], s[6:7]
	v_fma_f64 v[4:5], v[218:219], s[6:7], -v[0:1]
	v_add_f64 v[18:19], v[4:5], v[10:11]
	v_fma_f64 v[4:5], s[22:23], v[8:9], v[164:165]
	s_mov_b32 s57, 0x3fe9895b
	s_mov_b32 s56, s28
	v_add_f64 v[166:167], v[4:5], v[2:3]
	v_mul_f64 v[4:5], v[188:189], s[56:57]
	v_accvgpr_write_b32 a93, v5
	v_add_f64 v[190:191], v[114:115], -v[142:143]
	v_mul_f64 v[2:3], v[184:185], s[16:17]
	v_accvgpr_write_b32 a92, v4
	v_fma_f64 v[10:11], v[218:219], s[16:17], -v[4:5]
	v_add_f64 v[186:187], v[112:113], v[140:141]
	v_mul_f64 v[4:5], v[190:191], s[42:43]
	v_accvgpr_write_b32 a82, v164
	v_add_f64 v[168:169], v[10:11], v[14:15]
	v_fma_f64 v[10:11], s[56:57], v[8:9], v[2:3]
	v_add_f64 v[216:217], v[114:115], v[142:143]
	v_fma_f64 v[14:15], v[186:187], s[38:39], -v[4:5]
	v_accvgpr_write_b32 a83, v165
	v_add_f64 v[16:17], v[10:11], v[16:17]
	v_add_f64 v[10:11], v[112:113], -v[140:141]
	v_mul_f64 v[170:171], v[216:217], s[38:39]
	v_add_f64 v[164:165], v[14:15], v[18:19]
	v_mul_f64 v[18:19], v[190:191], s[52:53]
	v_fma_f64 v[14:15], s[42:43], v[10:11], v[170:171]
	v_accvgpr_write_b32 a105, v19
	v_add_f64 v[166:167], v[14:15], v[166:167]
	v_mul_f64 v[14:15], v[216:217], s[36:37]
	v_accvgpr_write_b32 a104, v18
	v_fma_f64 v[18:19], v[186:187], s[36:37], -v[18:19]
	v_accvgpr_write_b32 a84, v170
	v_add_f64 v[168:169], v[18:19], v[168:169]
	v_fma_f64 v[18:19], s[52:53], v[10:11], v[14:15]
	v_accvgpr_write_b32 a85, v171
	v_add_f64 v[170:171], v[18:19], v[16:17]
	s_barrier
	s_and_saveexec_b64 s[24:25], s[4:5]
	s_cbranch_execz .LBB0_17
; %bb.16:
	v_accvgpr_write_b32 a103, v13
	v_accvgpr_write_b32 a54, v204
	;; [unrolled: 1-line block ×3, first 2 shown]
	v_mul_f64 v[12:13], v[232:233], s[34:35]
	v_accvgpr_write_b32 a107, v5
	v_accvgpr_write_b32 a10, v212
	;; [unrolled: 1-line block ×5, first 2 shown]
	v_mul_f64 v[204:205], v[242:243], s[46:47]
	v_accvgpr_write_b32 a106, v4
	v_fma_f64 v[4:5], s[20:21], v[224:225], v[12:13]
	v_accvgpr_write_b32 a11, v213
	v_accvgpr_write_b32 a12, v214
	;; [unrolled: 1-line block ×4, first 2 shown]
	v_mul_f64 v[206:207], v[250:251], s[42:43]
	v_fma_f64 v[214:215], s[30:31], v[230:231], v[204:205]
	v_add_f64 v[4:5], v[118:119], v[4:5]
	v_accvgpr_write_b32 a65, v27
	v_accvgpr_write_b32 a109, v21
	v_mul_f64 v[212:213], v[174:175], s[52:53]
	v_accvgpr_write_b32 a7, v209
	v_accvgpr_write_b32 a8, v210
	;; [unrolled: 1-line block ×3, first 2 shown]
	v_fma_f64 v[208:209], s[38:39], v[238:239], v[206:207]
	v_add_f64 v[4:5], v[214:215], v[4:5]
	v_accvgpr_write_b32 a64, v26
	v_accvgpr_write_b32 a63, v25
	v_accvgpr_write_b32 a62, v24
	v_mul_f64 v[24:25], v[228:229], s[34:35]
	s_mov_b32 s54, s18
	v_accvgpr_write_b32 a101, v7
	v_accvgpr_write_b32 a108, v20
	v_mul_f64 v[20:21], v[180:181], s[28:29]
	v_accvgpr_write_b32 a99, v23
	v_fma_f64 v[210:211], s[36:37], v[246:247], v[212:213]
	v_add_f64 v[4:5], v[208:209], v[4:5]
	v_accvgpr_write_b32 a0, v194
	v_mul_f64 v[194:195], v[236:237], s[46:47]
	v_accvgpr_write_b32 a113, v1
	v_fma_f64 v[26:27], v[222:223], s[20:21], -v[24:25]
	s_mov_b32 s49, 0xbfeec746
	s_mov_b32 s48, s44
	v_accvgpr_write_b32 a100, v6
	v_mul_f64 v[6:7], v[220:221], s[54:55]
	v_accvgpr_write_b32 a98, v22
	v_fma_f64 v[22:23], s[16:17], v[254:255], v[20:21]
	v_add_f64 v[4:5], v[210:211], v[4:5]
	v_mul_f64 v[214:215], v[244:245], s[42:43]
	v_accvgpr_write_b32 a112, v0
	v_fma_f64 v[0:1], v[226:227], s[30:31], -v[194:195]
	v_add_f64 v[26:27], v[116:117], v[26:27]
	v_accvgpr_write_b32 a4, v200
	v_accvgpr_write_b32 a1, v201
	v_mul_f64 v[200:201], v[8:9], s[48:49]
	v_accvgpr_write_b32 a2, v198
	v_fma_f64 v[198:199], s[0:1], v[178:179], v[6:7]
	v_add_f64 v[4:5], v[22:23], v[4:5]
	v_mul_f64 v[210:211], v[252:253], s[52:53]
	v_add_f64 v[0:1], v[0:1], v[26:27]
	v_fma_f64 v[26:27], v[234:235], s[38:39], -v[214:215]
	s_mov_b32 s61, 0x3fefdd0d
	s_mov_b32 s60, s22
	v_accvgpr_write_b32 a3, v197
	v_mov_b32_e32 v197, v202
	v_fma_f64 v[202:203], s[26:27], v[184:185], v[200:201]
	v_add_f64 v[4:5], v[198:199], v[4:5]
	v_mul_f64 v[208:209], v[176:177], s[28:29]
	v_add_f64 v[0:1], v[26:27], v[0:1]
	v_fma_f64 v[26:27], v[240:241], s[36:37], -v[210:211]
	v_mul_f64 v[16:17], v[10:11], s[60:61]
	v_add_f64 v[4:5], v[202:203], v[4:5]
	v_mul_f64 v[202:203], v[182:183], s[54:55]
	v_add_f64 v[0:1], v[26:27], v[0:1]
	v_fma_f64 v[26:27], v[248:249], s[16:17], -v[208:209]
	v_fma_f64 v[18:19], s[6:7], v[216:217], v[16:17]
	v_accvgpr_write_b32 a119, v29
	v_mul_f64 v[22:23], v[188:189], s[48:49]
	v_add_f64 v[0:1], v[26:27], v[0:1]
	v_fma_f64 v[26:27], v[172:173], s[0:1], -v[202:203]
	v_accvgpr_write_b32 a118, v28
	v_add_f64 v[28:29], v[18:19], v[4:5]
	v_mul_f64 v[4:5], v[190:191], s[60:61]
	v_fma_f64 v[198:199], v[218:219], s[26:27], -v[22:23]
	v_add_f64 v[0:1], v[26:27], v[0:1]
	v_fma_f64 v[18:19], v[186:187], s[6:7], -v[4:5]
	v_add_f64 v[0:1], v[198:199], v[0:1]
	;; [unrolled: 2-line block ×3, first 2 shown]
	v_accvgpr_write_b32 a53, v29
	v_fma_f64 v[198:199], v[230:231], s[30:31], -v[204:205]
	v_add_f64 v[12:13], v[118:119], v[12:13]
	v_accvgpr_write_b32 a52, v28
	v_accvgpr_write_b32 a51, v27
	;; [unrolled: 1-line block ×3, first 2 shown]
	v_fma_f64 v[26:27], v[238:239], s[38:39], -v[206:207]
	v_add_f64 v[12:13], v[198:199], v[12:13]
	v_fma_f64 v[18:19], v[254:255], s[16:17], -v[20:21]
	v_fma_f64 v[20:21], v[246:247], s[36:37], -v[212:213]
	v_add_f64 v[12:13], v[26:27], v[12:13]
	v_add_f64 v[12:13], v[20:21], v[12:13]
	v_fma_f64 v[6:7], v[178:179], s[0:1], -v[6:7]
	v_add_f64 v[12:13], v[18:19], v[12:13]
	v_fma_f64 v[0:1], v[216:217], s[6:7], -v[16:17]
	v_fma_f64 v[16:17], v[184:185], s[26:27], -v[200:201]
	v_add_f64 v[6:7], v[6:7], v[12:13]
	v_add_f64 v[6:7], v[16:17], v[6:7]
	v_fmac_f64_e32 v[24:25], s[20:21], v[222:223]
	v_add_f64 v[6:7], v[0:1], v[6:7]
	v_fmac_f64_e32 v[194:195], s[30:31], v[226:227]
	;; [unrolled: 2-line block ×6, first 2 shown]
	v_add_f64 v[0:1], v[208:209], v[0:1]
	v_add_f64 v[0:1], v[202:203], v[0:1]
	v_mul_f64 v[202:203], v[232:233], s[42:43]
	v_mul_f64 v[198:199], v[242:243], s[54:55]
	v_fma_f64 v[204:205], s[38:39], v[224:225], v[202:203]
	v_fmac_f64_e32 v[22:23], s[26:27], v[218:219]
	v_mul_f64 v[26:27], v[250:251], s[22:23]
	v_fma_f64 v[200:201], s[0:1], v[230:231], v[198:199]
	v_add_f64 v[204:205], v[118:119], v[204:205]
	v_mul_f64 v[208:209], v[228:229], s[42:43]
	v_add_f64 v[0:1], v[22:23], v[0:1]
	v_mul_f64 v[22:23], v[174:175], s[56:57]
	v_fma_f64 v[194:195], s[6:7], v[238:239], v[26:27]
	v_add_f64 v[200:201], v[200:201], v[204:205]
	v_mul_f64 v[204:205], v[236:237], s[54:55]
	v_fma_f64 v[210:211], v[222:223], s[38:39], -v[208:209]
	v_fma_f64 v[202:203], v[224:225], s[38:39], -v[202:203]
	v_fmac_f64_e32 v[4:5], s[6:7], v[186:187]
	v_mul_f64 v[18:19], v[180:181], s[40:41]
	v_fma_f64 v[24:25], s[16:17], v[246:247], v[22:23]
	v_add_f64 v[194:195], v[194:195], v[200:201]
	v_mul_f64 v[200:201], v[244:245], s[22:23]
	v_fma_f64 v[206:207], v[226:227], s[0:1], -v[204:205]
	v_add_f64 v[210:211], v[116:117], v[210:211]
	v_fma_f64 v[198:199], v[230:231], s[0:1], -v[198:199]
	v_add_f64 v[202:203], v[118:119], v[202:203]
	v_add_f64 v[4:5], v[4:5], v[0:1]
	v_accvgpr_write_b32 a61, v7
	v_mul_f64 v[12:13], v[220:221], s[34:35]
	v_fma_f64 v[20:21], s[30:31], v[254:255], v[18:19]
	v_add_f64 v[24:25], v[24:25], v[194:195]
	v_mul_f64 v[194:195], v[252:253], s[56:57]
	v_add_f64 v[206:207], v[206:207], v[210:211]
	v_fma_f64 v[210:211], v[234:235], s[6:7], -v[200:201]
	v_fma_f64 v[26:27], v[238:239], s[6:7], -v[26:27]
	v_add_f64 v[198:199], v[198:199], v[202:203]
	v_accvgpr_write_b32 a60, v6
	v_accvgpr_write_b32 a59, v5
	;; [unrolled: 1-line block ×3, first 2 shown]
	v_mul_f64 v[4:5], v[8:9], s[52:53]
	v_fma_f64 v[16:17], s[20:21], v[178:179], v[12:13]
	v_add_f64 v[20:21], v[20:21], v[24:25]
	v_mul_f64 v[24:25], v[176:177], s[40:41]
	v_add_f64 v[206:207], v[210:211], v[206:207]
	v_fma_f64 v[210:211], v[240:241], s[16:17], -v[194:195]
	v_fma_f64 v[22:23], v[246:247], s[16:17], -v[22:23]
	v_add_f64 v[26:27], v[26:27], v[198:199]
	v_fma_f64 v[6:7], s[36:37], v[184:185], v[4:5]
	v_add_f64 v[16:17], v[16:17], v[20:21]
	v_mul_f64 v[20:21], v[182:183], s[34:35]
	v_add_f64 v[206:207], v[210:211], v[206:207]
	v_fma_f64 v[210:211], v[248:249], s[30:31], -v[24:25]
	v_fma_f64 v[18:19], v[254:255], s[30:31], -v[18:19]
	v_add_f64 v[22:23], v[22:23], v[26:27]
	v_add_f64 v[6:7], v[6:7], v[16:17]
	v_mul_f64 v[16:17], v[188:189], s[52:53]
	v_add_f64 v[206:207], v[210:211], v[206:207]
	v_fma_f64 v[210:211], v[172:173], s[20:21], -v[20:21]
	v_fma_f64 v[12:13], v[178:179], s[20:21], -v[12:13]
	v_add_f64 v[18:19], v[18:19], v[22:23]
	v_mul_f64 v[0:1], v[10:11], s[48:49]
	v_add_f64 v[206:207], v[210:211], v[206:207]
	v_fma_f64 v[210:211], v[218:219], s[36:37], -v[16:17]
	v_fma_f64 v[4:5], v[184:185], s[36:37], -v[4:5]
	v_add_f64 v[12:13], v[12:13], v[18:19]
	v_add_f64 v[206:207], v[210:211], v[206:207]
	v_fma_f64 v[210:211], s[26:27], v[216:217], v[0:1]
	v_fma_f64 v[0:1], v[216:217], s[26:27], -v[0:1]
	v_add_f64 v[4:5], v[4:5], v[12:13]
	v_fmac_f64_e32 v[208:209], s[38:39], v[222:223]
	v_add_f64 v[18:19], v[0:1], v[4:5]
	v_fmac_f64_e32 v[204:205], s[0:1], v[226:227]
	v_add_f64 v[0:1], v[116:117], v[208:209]
	v_fmac_f64_e32 v[200:201], s[6:7], v[234:235]
	v_add_f64 v[0:1], v[204:205], v[0:1]
	v_fmac_f64_e32 v[194:195], s[16:17], v[240:241]
	v_add_f64 v[0:1], v[200:201], v[0:1]
	v_fmac_f64_e32 v[24:25], s[30:31], v[248:249]
	v_add_f64 v[0:1], v[194:195], v[0:1]
	v_fmac_f64_e32 v[20:21], s[20:21], v[172:173]
	v_add_f64 v[0:1], v[24:25], v[0:1]
	v_mul_f64 v[200:201], v[232:233], s[28:29]
	v_add_f64 v[212:213], v[210:211], v[6:7]
	v_mul_f64 v[6:7], v[190:191], s[48:49]
	v_fmac_f64_e32 v[16:17], s[36:37], v[218:219]
	v_add_f64 v[0:1], v[20:21], v[0:1]
	v_mul_f64 v[194:195], v[242:243], s[44:45]
	v_fma_f64 v[202:203], s[16:17], v[224:225], v[200:201]
	v_fma_f64 v[210:211], v[186:187], s[26:27], -v[6:7]
	v_fmac_f64_e32 v[6:7], s[26:27], v[186:187]
	v_add_f64 v[0:1], v[16:17], v[0:1]
	v_mul_f64 v[24:25], v[250:251], s[40:41]
	v_fma_f64 v[198:199], s[26:27], v[230:231], v[194:195]
	v_add_f64 v[202:203], v[118:119], v[202:203]
	v_add_f64 v[16:17], v[6:7], v[0:1]
	v_accvgpr_write_b32 a81, v19
	v_mul_f64 v[20:21], v[174:175], s[42:43]
	v_fma_f64 v[26:27], s[30:31], v[238:239], v[24:25]
	v_add_f64 v[198:199], v[198:199], v[202:203]
	v_accvgpr_write_b32 a80, v18
	v_accvgpr_write_b32 a79, v17
	;; [unrolled: 1-line block ×3, first 2 shown]
	s_mov_b32 s59, 0xbfe58eea
	s_mov_b32 s58, s52
	v_mul_f64 v[16:17], v[180:181], s[60:61]
	v_fma_f64 v[22:23], s[38:39], v[246:247], v[20:21]
	v_add_f64 v[26:27], v[26:27], v[198:199]
	v_mul_f64 v[6:7], v[220:221], s[58:59]
	v_fma_f64 v[18:19], s[6:7], v[254:255], v[16:17]
	v_add_f64 v[22:23], v[22:23], v[26:27]
	v_mul_f64 v[198:199], v[228:229], s[28:29]
	v_mul_f64 v[0:1], v[8:9], s[34:35]
	v_fma_f64 v[12:13], s[36:37], v[178:179], v[6:7]
	v_add_f64 v[18:19], v[18:19], v[22:23]
	v_mul_f64 v[22:23], v[236:237], s[44:45]
	v_fma_f64 v[202:203], v[222:223], s[16:17], -v[198:199]
	v_fma_f64 v[4:5], s[20:21], v[184:185], v[0:1]
	v_add_f64 v[12:13], v[12:13], v[18:19]
	v_mul_f64 v[18:19], v[244:245], s[40:41]
	v_fma_f64 v[26:27], v[226:227], s[26:27], -v[22:23]
	v_add_f64 v[202:203], v[116:117], v[202:203]
	v_add_f64 v[4:5], v[4:5], v[12:13]
	v_mul_f64 v[12:13], v[252:253], s[42:43]
	v_add_f64 v[26:27], v[26:27], v[202:203]
	v_fma_f64 v[202:203], v[234:235], s[30:31], -v[18:19]
	v_add_f64 v[26:27], v[202:203], v[26:27]
	v_fma_f64 v[202:203], v[240:241], s[38:39], -v[12:13]
	v_add_f64 v[26:27], v[202:203], v[26:27]
	v_mul_f64 v[202:203], v[176:177], s[60:61]
	v_fma_f64 v[204:205], v[248:249], s[6:7], -v[202:203]
	v_add_f64 v[26:27], v[204:205], v[26:27]
	v_mul_f64 v[204:205], v[182:183], s[58:59]
	v_add_f64 v[210:211], v[210:211], v[206:207]
	v_fma_f64 v[206:207], v[172:173], s[36:37], -v[204:205]
	v_add_f64 v[26:27], v[206:207], v[26:27]
	v_mul_f64 v[206:207], v[188:189], s[34:35]
	v_fma_f64 v[208:209], v[218:219], s[20:21], -v[206:207]
	v_accvgpr_write_b32 a66, v210
	v_add_f64 v[26:27], v[208:209], v[26:27]
	v_mul_f64 v[208:209], v[10:11], s[54:55]
	v_accvgpr_write_b32 a67, v211
	v_accvgpr_write_b32 a68, v212
	;; [unrolled: 1-line block ×3, first 2 shown]
	v_fma_f64 v[210:211], s[0:1], v[216:217], v[208:209]
	v_add_f64 v[28:29], v[210:211], v[4:5]
	v_mul_f64 v[4:5], v[190:191], s[54:55]
	v_fma_f64 v[210:211], v[186:187], s[0:1], -v[4:5]
	v_add_f64 v[26:27], v[210:211], v[26:27]
	v_accvgpr_write_b32 a97, v29
	v_accvgpr_write_b32 a96, v28
	v_accvgpr_write_b32 a95, v27
	v_accvgpr_write_b32 a94, v26
	v_fma_f64 v[26:27], v[230:231], s[26:27], -v[194:195]
	v_fma_f64 v[194:195], v[224:225], s[16:17], -v[200:201]
	v_add_f64 v[194:195], v[118:119], v[194:195]
	v_add_f64 v[26:27], v[26:27], v[194:195]
	v_fma_f64 v[24:25], v[238:239], s[30:31], -v[24:25]
	v_add_f64 v[24:25], v[24:25], v[26:27]
	v_fma_f64 v[20:21], v[246:247], s[38:39], -v[20:21]
	;; [unrolled: 2-line block ×4, first 2 shown]
	v_fma_f64 v[0:1], v[184:185], s[20:21], -v[0:1]
	v_add_f64 v[6:7], v[6:7], v[16:17]
	v_fma_f64 v[20:21], v[216:217], s[0:1], -v[208:209]
	v_add_f64 v[0:1], v[0:1], v[6:7]
	v_fmac_f64_e32 v[198:199], s[16:17], v[222:223]
	v_add_f64 v[6:7], v[20:21], v[0:1]
	v_fmac_f64_e32 v[22:23], s[26:27], v[226:227]
	;; [unrolled: 2-line block ×5, first 2 shown]
	v_add_f64 v[0:1], v[12:13], v[0:1]
	s_mov_b32 s63, 0x3fe0d888
	s_mov_b32 s62, s42
	v_mul_f64 v[26:27], v[232:233], s[48:49]
	v_fmac_f64_e32 v[204:205], s[36:37], v[172:173]
	v_add_f64 v[0:1], v[202:203], v[0:1]
	v_mul_f64 v[24:25], v[242:243], s[62:63]
	v_fma_f64 v[18:19], s[26:27], v[224:225], v[26:27]
	v_fmac_f64_e32 v[206:207], s[20:21], v[218:219]
	v_add_f64 v[0:1], v[204:205], v[0:1]
	v_mul_f64 v[22:23], v[250:251], s[52:53]
	v_fma_f64 v[16:17], s[38:39], v[230:231], v[24:25]
	v_add_f64 v[18:19], v[118:119], v[18:19]
	v_fmac_f64_e32 v[4:5], s[0:1], v[186:187]
	v_add_f64 v[0:1], v[206:207], v[0:1]
	v_mul_f64 v[20:21], v[174:175], s[18:19]
	v_add_f64 v[16:17], v[16:17], v[18:19]
	v_fma_f64 v[18:19], s[36:37], v[238:239], v[22:23]
	v_add_f64 v[4:5], v[4:5], v[0:1]
	v_accvgpr_write_b32 a117, v7
	v_mul_f64 v[12:13], v[180:181], s[34:35]
	v_add_f64 v[16:17], v[18:19], v[16:17]
	v_fma_f64 v[18:19], s[0:1], v[246:247], v[20:21]
	v_fma_f64 v[26:27], v[224:225], s[26:27], -v[26:27]
	v_accvgpr_write_b32 a116, v6
	v_accvgpr_write_b32 a115, v5
	;; [unrolled: 1-line block ×3, first 2 shown]
	v_mul_f64 v[6:7], v[220:221], s[60:61]
	v_add_f64 v[16:17], v[18:19], v[16:17]
	v_fma_f64 v[18:19], s[20:21], v[254:255], v[12:13]
	v_fma_f64 v[24:25], v[230:231], s[38:39], -v[24:25]
	v_add_f64 v[26:27], v[118:119], v[26:27]
	v_mul_f64 v[0:1], v[8:9], s[40:41]
	v_add_f64 v[16:17], v[18:19], v[16:17]
	v_fma_f64 v[18:19], s[6:7], v[178:179], v[6:7]
	v_add_f64 v[24:25], v[24:25], v[26:27]
	v_fma_f64 v[22:23], v[238:239], s[36:37], -v[22:23]
	v_fma_f64 v[4:5], s[30:31], v[184:185], v[0:1]
	v_add_f64 v[16:17], v[18:19], v[16:17]
	v_mul_f64 v[194:195], v[228:229], s[48:49]
	v_add_f64 v[22:23], v[22:23], v[24:25]
	v_fma_f64 v[20:21], v[246:247], s[0:1], -v[20:21]
	v_add_f64 v[4:5], v[4:5], v[16:17]
	v_fma_f64 v[16:17], v[222:223], s[26:27], -v[194:195]
	v_mul_f64 v[198:199], v[236:237], s[62:63]
	v_add_f64 v[20:21], v[20:21], v[22:23]
	v_fma_f64 v[12:13], v[254:255], s[20:21], -v[12:13]
	v_add_f64 v[16:17], v[116:117], v[16:17]
	v_fma_f64 v[18:19], v[226:227], s[38:39], -v[198:199]
	;; [unrolled: 5-line block ×3, first 2 shown]
	v_mul_f64 v[202:203], v[252:253], s[18:19]
	v_add_f64 v[6:7], v[6:7], v[12:13]
	v_fma_f64 v[0:1], v[184:185], s[30:31], -v[0:1]
	v_fmac_f64_e32 v[194:195], s[26:27], v[222:223]
	v_add_f64 v[16:17], v[18:19], v[16:17]
	v_fma_f64 v[18:19], v[240:241], s[0:1], -v[202:203]
	v_mul_f64 v[204:205], v[176:177], s[34:35]
	v_add_f64 v[0:1], v[0:1], v[6:7]
	v_fmac_f64_e32 v[198:199], s[38:39], v[226:227]
	v_add_f64 v[6:7], v[116:117], v[194:195]
	v_add_f64 v[16:17], v[18:19], v[16:17]
	v_fma_f64 v[18:19], v[248:249], s[20:21], -v[204:205]
	v_mul_f64 v[206:207], v[182:183], s[60:61]
	v_add_f64 v[6:7], v[198:199], v[6:7]
	v_fmac_f64_e32 v[200:201], s[36:37], v[234:235]
	v_add_f64 v[16:17], v[18:19], v[16:17]
	v_fma_f64 v[18:19], v[172:173], s[6:7], -v[206:207]
	v_mul_f64 v[208:209], v[188:189], s[40:41]
	v_add_f64 v[6:7], v[200:201], v[6:7]
	v_fmac_f64_e32 v[202:203], s[0:1], v[240:241]
	;; [unrolled: 5-line block ×3, first 2 shown]
	v_add_f64 v[16:17], v[18:19], v[16:17]
	v_fma_f64 v[18:19], s[16:17], v[216:217], v[210:211]
	v_add_f64 v[6:7], v[204:205], v[6:7]
	v_fmac_f64_e32 v[206:207], s[6:7], v[172:173]
	v_add_f64 v[18:19], v[18:19], v[4:5]
	v_mul_f64 v[4:5], v[190:191], s[28:29]
	v_add_f64 v[6:7], v[206:207], v[6:7]
	v_fmac_f64_e32 v[208:209], s[30:31], v[218:219]
	v_fma_f64 v[212:213], v[186:187], s[16:17], -v[4:5]
	v_add_f64 v[6:7], v[208:209], v[6:7]
	v_fmac_f64_e32 v[4:5], s[16:17], v[186:187]
	v_add_f64 v[200:201], v[4:5], v[6:7]
	v_mul_f64 v[4:5], v[10:11], s[52:53]
	v_fma_f64 v[26:27], v[216:217], s[16:17], -v[210:211]
	v_add_f64 v[4:5], v[14:15], -v[4:5]
	v_mul_f64 v[6:7], v[8:9], s[56:57]
	v_accvgpr_read_b32 v14, a110
	v_add_f64 v[202:203], v[26:27], v[0:1]
	v_add_f64 v[2:3], v[2:3], -v[6:7]
	v_mul_f64 v[6:7], v[220:221], s[42:43]
	v_accvgpr_read_b32 v15, a111
	v_accvgpr_read_b32 v26, a90
	v_add_f64 v[6:7], v[14:15], -v[6:7]
	v_mul_f64 v[14:15], v[180:181], s[18:19]
	v_accvgpr_read_b32 v27, a91
	v_accvgpr_read_b32 v28, a86
	v_add_f64 v[14:15], v[26:27], -v[14:15]
	v_mul_f64 v[26:27], v[174:175], s[46:47]
	v_accvgpr_read_b32 v29, a87
	v_add_f64 v[26:27], v[28:29], -v[26:27]
	v_accvgpr_read_b32 v28, a72
	v_mul_f64 v[194:195], v[250:251], s[44:45]
	v_accvgpr_read_b32 v29, a73
	v_add_f64 v[194:195], v[28:29], -v[194:195]
	v_accvgpr_read_b32 v28, a28
	;; [unrolled: 4-line block ×3, first 2 shown]
	v_mul_f64 v[24:25], v[232:233], s[22:23]
	v_accvgpr_read_b32 v28, a24
	v_add_f64 v[24:25], v[28:29], -v[24:25]
	v_add_f64 v[24:25], v[118:119], v[24:25]
	v_add_f64 v[24:25], v[198:199], v[24:25]
	;; [unrolled: 1-line block ×6, first 2 shown]
	v_accvgpr_read_b32 v28, a104
	v_add_f64 v[2:3], v[2:3], v[6:7]
	v_mul_f64 v[6:7], v[186:187], s[36:37]
	v_accvgpr_read_b32 v29, a105
	v_add_f64 v[6:7], v[6:7], v[28:29]
	v_accvgpr_read_b32 v28, a92
	v_mul_f64 v[206:207], v[218:219], s[16:17]
	v_accvgpr_read_b32 v29, a93
	v_add_f64 v[210:211], v[206:207], v[28:29]
	v_accvgpr_read_b32 v28, a88
	v_mul_f64 v[206:207], v[172:173], s[38:39]
	v_accvgpr_read_b32 v29, a89
	v_add_f64 v[16:17], v[212:213], v[16:17]
	v_add_f64 v[212:213], v[206:207], v[28:29]
	v_accvgpr_read_b32 v28, a74
	v_accvgpr_read_b32 v29, a75
	v_accvgpr_write_b32 a75, v59
	v_accvgpr_write_b32 a74, v58
	;; [unrolled: 1-line block ×4, first 2 shown]
	v_mov_b64_e32 v[56:57], v[40:41]
	v_accvgpr_read_b32 v41, a27
	v_mul_f64 v[206:207], v[248:249], s[0:1]
	v_accvgpr_read_b32 v40, a26
	v_accvgpr_write_b32 a26, v52
	v_add_f64 v[206:207], v[206:207], v[28:29]
	v_accvgpr_read_b32 v28, a32
	v_accvgpr_write_b32 a27, v53
	v_accvgpr_write_b32 a28, v54
	;; [unrolled: 1-line block ×3, first 2 shown]
	v_accvgpr_read_b32 v53, a31
	v_accvgpr_read_b32 v29, a33
	;; [unrolled: 1-line block ×3, first 2 shown]
	v_accvgpr_write_b32 a30, v32
	v_accvgpr_write_b32 a31, v33
	;; [unrolled: 1-line block ×4, first 2 shown]
	v_accvgpr_read_b32 v34, a118
	v_mul_f64 v[22:23], v[222:223], s[6:7]
	v_accvgpr_read_b32 v55, a23
	v_accvgpr_read_b32 v35, a119
	v_mul_f64 v[204:205], v[226:227], s[20:21]
	v_accvgpr_read_b32 v54, a22
	v_add_f64 v[22:23], v[22:23], v[34:35]
	v_mul_f64 v[26:27], v[234:235], s[26:27]
	v_add_f64 v[204:205], v[204:205], v[54:55]
	v_add_f64 v[22:23], v[116:117], v[22:23]
	v_mul_f64 v[214:215], v[240:241], s[30:31]
	v_add_f64 v[26:27], v[26:27], v[40:41]
	v_add_f64 v[22:23], v[204:205], v[22:23]
	;; [unrolled: 1-line block ×5, first 2 shown]
	v_mov_b64_e32 v[40:41], v[30:31]
	v_mul_f64 v[30:31], v[180:181], s[52:53]
	v_add_f64 v[22:23], v[206:207], v[22:23]
	v_add_f64 v[206:207], v[4:5], v[2:3]
	v_accvgpr_read_b32 v4, a82
	v_mul_f64 v[20:21], v[232:233], s[18:19]
	v_mul_f64 v[26:27], v[8:9], s[22:23]
	v_add_f64 v[2:3], v[212:213], v[22:23]
	v_accvgpr_read_b32 v5, a83
	v_add_f64 v[22:23], v[56:57], -v[30:31]
	v_accvgpr_read_b32 v30, a108
	v_mul_f64 v[208:209], v[242:243], s[28:29]
	v_add_f64 v[4:5], v[4:5], -v[26:27]
	v_accvgpr_read_b32 v26, a36
	v_accvgpr_read_b32 v31, a109
	v_add_f64 v[20:21], v[46:47], -v[20:21]
	v_mul_f64 v[194:195], v[250:251], s[50:51]
	v_mul_f64 v[14:15], v[174:175], s[44:45]
	v_accvgpr_read_b32 v27, a37
	v_add_f64 v[30:31], v[30:31], -v[208:209]
	v_add_f64 v[20:21], v[118:119], v[20:21]
	v_add_f64 v[2:3], v[210:211], v[2:3]
	v_add_f64 v[14:15], v[26:27], -v[14:15]
	v_add_f64 v[26:27], v[40:41], -v[194:195]
	v_add_f64 v[20:21], v[30:31], v[20:21]
	v_add_f64 v[204:205], v[6:7], v[2:3]
	v_accvgpr_read_b32 v6, a76
	v_add_f64 v[20:21], v[26:27], v[20:21]
	v_mul_f64 v[34:35], v[220:221], s[40:41]
	v_accvgpr_read_b32 v7, a77
	v_add_f64 v[14:15], v[14:15], v[20:21]
	v_accvgpr_read_b32 v2, a84
	v_add_f64 v[6:7], v[6:7], -v[34:35]
	v_add_f64 v[14:15], v[22:23], v[14:15]
	v_mul_f64 v[214:215], v[10:11], s[42:43]
	v_accvgpr_read_b32 v3, a85
	v_add_f64 v[6:7], v[6:7], v[14:15]
	v_accvgpr_read_b32 v20, a34
	v_mul_f64 v[24:25], v[240:241], s[26:27]
	v_add_f64 v[2:3], v[2:3], -v[214:215]
	v_add_f64 v[4:5], v[4:5], v[6:7]
	v_accvgpr_read_b32 v21, a35
	v_mul_f64 v[12:13], v[222:223], s[0:1]
	v_accvgpr_write_b32 a22, v36
	v_add_f64 v[214:215], v[2:3], v[4:5]
	v_accvgpr_read_b32 v4, a112
	v_add_f64 v[20:21], v[24:25], v[20:21]
	v_accvgpr_read_b32 v24, a102
	v_mul_f64 v[0:1], v[226:227], s[16:17]
	v_accvgpr_write_b32 a23, v37
	v_accvgpr_write_b32 a24, v38
	;; [unrolled: 1-line block ×3, first 2 shown]
	v_mul_f64 v[36:37], v[218:219], s[6:7]
	v_accvgpr_read_b32 v2, a106
	v_accvgpr_read_b32 v5, a113
	;; [unrolled: 1-line block ×5, first 2 shown]
	v_add_f64 v[12:13], v[12:13], v[52:53]
	v_mul_f64 v[198:199], v[234:235], s[20:21]
	v_mul_f64 v[32:33], v[172:173], s[30:31]
	;; [unrolled: 1-line block ×3, first 2 shown]
	v_accvgpr_read_b32 v3, a107
	v_add_f64 v[4:5], v[36:37], v[4:5]
	v_accvgpr_read_b32 v7, a101
	v_accvgpr_read_b32 v14, a70
	;; [unrolled: 1-line block ×3, first 2 shown]
	v_add_f64 v[0:1], v[0:1], v[24:25]
	v_accvgpr_read_b32 v55, a29
	v_add_f64 v[12:13], v[116:117], v[12:13]
	v_mul_f64 v[36:37], v[232:233], s[58:59]
	v_mul_f64 v[28:29], v[248:249], s[36:37]
	v_add_f64 v[2:3], v[38:39], v[2:3]
	v_add_f64 v[6:7], v[32:33], v[6:7]
	v_accvgpr_read_b32 v15, a71
	v_add_f64 v[22:23], v[198:199], v[22:23]
	v_accvgpr_read_b32 v54, a28
	v_accvgpr_read_b32 v53, a27
	;; [unrolled: 1-line block ×3, first 2 shown]
	v_add_f64 v[0:1], v[0:1], v[12:13]
	v_mul_f64 v[32:33], v[242:243], s[22:23]
	v_fma_f64 v[38:39], s[36:37], v[224:225], v[36:37]
	v_accvgpr_write_b32 a26, v48
	v_add_f64 v[14:15], v[28:29], v[14:15]
	v_add_f64 v[0:1], v[22:23], v[0:1]
	v_mul_f64 v[28:29], v[250:251], s[28:29]
	v_fma_f64 v[34:35], s[6:7], v[230:231], v[32:33]
	v_add_f64 v[38:39], v[118:119], v[38:39]
	v_accvgpr_write_b32 a34, v42
	v_accvgpr_write_b32 a27, v49
	;; [unrolled: 1-line block ×4, first 2 shown]
	v_mul_f64 v[48:49], v[228:229], s[58:59]
	v_add_f64 v[0:1], v[20:21], v[0:1]
	v_mul_f64 v[24:25], v[174:175], s[34:35]
	v_fma_f64 v[30:31], s[16:17], v[238:239], v[28:29]
	v_add_f64 v[34:35], v[34:35], v[38:39]
	v_accvgpr_write_b32 a35, v43
	v_accvgpr_write_b32 a36, v44
	;; [unrolled: 1-line block ×3, first 2 shown]
	v_mul_f64 v[44:45], v[236:237], s[22:23]
	v_fma_f64 v[50:51], v[222:223], s[36:37], -v[48:49]
	v_add_f64 v[0:1], v[14:15], v[0:1]
	v_mul_f64 v[20:21], v[180:181], s[62:63]
	v_fma_f64 v[26:27], s[20:21], v[246:247], v[24:25]
	v_add_f64 v[30:31], v[30:31], v[34:35]
	v_mul_f64 v[40:41], v[244:245], s[28:29]
	v_fma_f64 v[46:47], v[226:227], s[6:7], -v[44:45]
	v_add_f64 v[50:51], v[116:117], v[50:51]
	v_add_f64 v[0:1], v[6:7], v[0:1]
	v_mul_f64 v[12:13], v[220:221], s[44:45]
	v_fma_f64 v[22:23], s[38:39], v[254:255], v[20:21]
	v_add_f64 v[26:27], v[26:27], v[30:31]
	v_mul_f64 v[194:195], v[252:253], s[34:35]
	v_fma_f64 v[42:43], v[234:235], s[16:17], -v[40:41]
	v_add_f64 v[46:47], v[46:47], v[50:51]
	;; [unrolled: 7-line block ×4, first 2 shown]
	v_fma_f64 v[2:3], s[30:31], v[216:217], v[0:1]
	v_add_f64 v[6:7], v[6:7], v[14:15]
	v_mul_f64 v[14:15], v[188:189], s[54:55]
	v_fma_f64 v[30:31], v[172:173], s[26:27], -v[26:27]
	v_add_f64 v[38:39], v[38:39], v[42:43]
	v_add_f64 v[210:211], v[2:3], v[6:7]
	v_mul_f64 v[6:7], v[190:191], s[46:47]
	v_fma_f64 v[22:23], v[218:219], s[0:1], -v[14:15]
	v_add_f64 v[30:31], v[30:31], v[38:39]
	v_fma_f64 v[2:3], v[186:187], s[30:31], -v[6:7]
	v_add_f64 v[22:23], v[22:23], v[30:31]
	v_add_f64 v[208:209], v[2:3], v[22:23]
	v_fma_f64 v[22:23], v[238:239], s[16:17], -v[28:29]
	v_fma_f64 v[28:29], v[224:225], s[36:37], -v[36:37]
	;; [unrolled: 1-line block ×7, first 2 shown]
	v_add_f64 v[28:29], v[118:119], v[28:29]
	v_add_f64 v[24:25], v[24:25], v[28:29]
	v_add_f64 v[22:23], v[22:23], v[24:25]
	v_add_f64 v[20:21], v[20:21], v[22:23]
	v_add_f64 v[12:13], v[12:13], v[20:21]
	v_add_f64 v[4:5], v[4:5], v[12:13]
	v_fma_f64 v[0:1], v[216:217], s[30:31], -v[0:1]
	v_add_f64 v[2:3], v[2:3], v[4:5]
	v_fmac_f64_e32 v[48:49], s[36:37], v[222:223]
	v_add_f64 v[2:3], v[0:1], v[2:3]
	v_fmac_f64_e32 v[44:45], s[6:7], v[226:227]
	;; [unrolled: 2-line block ×4, first 2 shown]
	v_add_f64 v[0:1], v[40:41], v[0:1]
	v_mul_f64 v[36:37], v[232:233], s[40:41]
	v_fmac_f64_e32 v[34:35], s[38:39], v[248:249]
	v_add_f64 v[0:1], v[194:195], v[0:1]
	v_mul_f64 v[32:33], v[242:243], s[58:59]
	v_fma_f64 v[38:39], s[30:31], v[224:225], v[36:37]
	v_add_f64 v[0:1], v[34:35], v[0:1]
	v_fma_f64 v[34:35], s[36:37], v[230:231], v[32:33]
	v_add_f64 v[38:39], v[118:119], v[38:39]
	v_add_f64 v[34:35], v[34:35], v[38:39]
	v_mul_f64 v[38:39], v[176:177], s[48:49]
	v_mul_f64 v[176:177], v[228:229], s[40:41]
	;; [unrolled: 1-line block ×5, first 2 shown]
	v_fma_f64 v[180:181], v[222:223], s[30:31], -v[176:177]
	v_fmac_f64_e32 v[26:27], s[26:27], v[172:173]
	v_mul_f64 v[24:25], v[174:175], s[22:23]
	v_fma_f64 v[30:31], s[0:1], v[238:239], v[28:29]
	v_mul_f64 v[46:47], v[244:245], s[18:19]
	v_fma_f64 v[174:175], v[226:227], s[36:37], -v[50:51]
	v_add_f64 v[180:181], v[116:117], v[180:181]
	v_add_f64 v[0:1], v[26:27], v[0:1]
	v_fma_f64 v[26:27], s[6:7], v[246:247], v[24:25]
	v_add_f64 v[30:31], v[30:31], v[34:35]
	v_mul_f64 v[42:43], v[252:253], s[22:23]
	v_fma_f64 v[48:49], v[234:235], s[0:1], -v[46:47]
	v_add_f64 v[174:175], v[174:175], v[180:181]
	v_fmac_f64_e32 v[14:15], s[0:1], v[218:219]
	v_mul_f64 v[12:13], v[220:221], s[28:29]
	v_fma_f64 v[22:23], s[26:27], v[254:255], v[20:21]
	v_add_f64 v[26:27], v[26:27], v[30:31]
	v_fma_f64 v[44:45], v[240:241], s[6:7], -v[42:43]
	v_add_f64 v[48:49], v[48:49], v[174:175]
	v_fmac_f64_e32 v[6:7], s[30:31], v[186:187]
	v_add_f64 v[0:1], v[14:15], v[0:1]
	v_mul_f64 v[8:9], v[8:9], s[42:43]
	v_fma_f64 v[14:15], s[16:17], v[178:179], v[12:13]
	v_add_f64 v[22:23], v[22:23], v[26:27]
	v_mul_f64 v[30:31], v[182:183], s[28:29]
	v_fma_f64 v[40:41], v[248:249], s[26:27], -v[38:39]
	v_add_f64 v[44:45], v[44:45], v[48:49]
	v_add_f64 v[0:1], v[6:7], v[0:1]
	v_mul_f64 v[10:11], v[10:11], s[34:35]
	v_fma_f64 v[6:7], s[38:39], v[184:185], v[8:9]
	v_add_f64 v[14:15], v[14:15], v[22:23]
	v_mul_f64 v[22:23], v[188:189], s[42:43]
	v_fma_f64 v[34:35], v[172:173], s[16:17], -v[30:31]
	v_add_f64 v[40:41], v[40:41], v[44:45]
	v_fma_f64 v[4:5], s[20:21], v[216:217], v[10:11]
	v_add_f64 v[6:7], v[6:7], v[14:15]
	v_mul_f64 v[14:15], v[190:191], s[34:35]
	v_fma_f64 v[26:27], v[218:219], s[38:39], -v[22:23]
	v_add_f64 v[34:35], v[34:35], v[40:41]
	v_add_f64 v[6:7], v[4:5], v[6:7]
	v_fma_f64 v[4:5], v[186:187], s[20:21], -v[14:15]
	v_add_f64 v[26:27], v[26:27], v[34:35]
	v_add_f64 v[4:5], v[4:5], v[26:27]
	v_fma_f64 v[26:27], v[238:239], s[0:1], -v[28:29]
	v_fma_f64 v[28:29], v[230:231], s[36:37], -v[32:33]
	;; [unrolled: 1-line block ×3, first 2 shown]
	v_add_f64 v[32:33], v[118:119], v[32:33]
	v_add_f64 v[28:29], v[28:29], v[32:33]
	v_fma_f64 v[24:25], v[246:247], s[6:7], -v[24:25]
	v_add_f64 v[26:27], v[26:27], v[28:29]
	v_fma_f64 v[20:21], v[254:255], s[26:27], -v[20:21]
	;; [unrolled: 2-line block ×4, first 2 shown]
	v_add_f64 v[12:13], v[12:13], v[20:21]
	v_add_f64 v[8:9], v[8:9], v[12:13]
	;; [unrolled: 1-line block ×8, first 2 shown]
	v_fma_f64 v[10:11], v[216:217], s[20:21], -v[10:11]
	v_fmac_f64_e32 v[176:177], s[30:31], v[222:223]
	v_add_f64 v[12:13], v[12:13], v[146:147]
	v_add_f64 v[10:11], v[10:11], v[8:9]
	v_fmac_f64_e32 v[50:51], s[36:37], v[226:227]
	v_add_f64 v[8:9], v[116:117], v[176:177]
	v_add_f64 v[12:13], v[12:13], v[114:115]
	;; [unrolled: 3-line block ×7, first 2 shown]
	v_accvgpr_read_b32 v24, a62
	v_add_f64 v[8:9], v[22:23], v[8:9]
	v_add_f64 v[12:13], v[12:13], v[158:159]
	v_accvgpr_read_b32 v26, a64
	v_accvgpr_read_b32 v27, a65
	;; [unrolled: 1-line block ×3, first 2 shown]
	v_fmac_f64_e32 v[14:15], s[20:21], v[186:187]
	v_add_f64 v[12:13], v[12:13], v[26:27]
	v_accvgpr_read_b32 v22, a56
	v_accvgpr_read_b32 v23, a57
	v_add_f64 v[8:9], v[14:15], v[8:9]
	v_add_f64 v[14:15], v[12:13], v[22:23]
	;; [unrolled: 1-line block ×15, first 2 shown]
	v_accvgpr_read_b32 v25, a63
	v_add_f64 v[12:13], v[12:13], v[156:157]
	v_accvgpr_read_b32 v198, a2
	v_accvgpr_read_b32 v21, a55
	v_add_f64 v[12:13], v[12:13], v[24:25]
	v_add_f64 v[12:13], v[12:13], v[20:21]
	v_mul_lo_u16_e32 v20, 17, v198
	v_lshl_add_u32 v20, v20, 4, v197
	v_accvgpr_read_b32 v56, a72
	v_accvgpr_read_b32 v35, a33
	;; [unrolled: 1-line block ×5, first 2 shown]
	ds_write_b128 v20, v[12:15]
	ds_write_b128 v20, v[8:11] offset:16
	ds_write_b128 v20, v[0:3] offset:32
	;; [unrolled: 1-line block ×3, first 2 shown]
	v_accvgpr_read_b32 v215, a13
	ds_write_b128 v20, v[204:207] offset:64
	ds_write_b128 v20, v[200:203] offset:80
	ds_write_b128 v20, a[114:117] offset:96
	ds_write_b128 v20, a[78:81] offset:112
	ds_write_b128 v20, a[58:61] offset:128
	ds_write_b128 v20, a[50:53] offset:144
	ds_write_b128 v20, a[66:69] offset:160
	ds_write_b128 v20, a[94:97] offset:176
	ds_write_b128 v20, v[16:19] offset:192
	ds_write_b128 v20, v[168:171] offset:208
	ds_write_b128 v20, v[164:167] offset:224
	ds_write_b128 v20, v[208:211] offset:240
	v_accvgpr_read_b32 v211, a9
	v_accvgpr_read_b32 v57, a73
	v_accvgpr_read_b32 v58, a74
	v_accvgpr_read_b32 v59, a75
	v_accvgpr_read_b32 v194, a0
	v_accvgpr_read_b32 v34, a32
	v_accvgpr_read_b32 v33, a31
	v_accvgpr_read_b32 v32, a30
	v_accvgpr_read_b32 v50, a28
	v_accvgpr_read_b32 v49, a27
	v_accvgpr_read_b32 v48, a26
	v_accvgpr_read_b32 v44, a36
	v_accvgpr_read_b32 v43, a35
	v_accvgpr_read_b32 v42, a34
	v_accvgpr_read_b32 v38, a24
	v_accvgpr_read_b32 v37, a23
	v_accvgpr_read_b32 v36, a22
	v_accvgpr_read_b32 v197, a3
	v_accvgpr_read_b32 v214, a12
	v_accvgpr_read_b32 v213, a11
	v_accvgpr_read_b32 v212, a10
	v_accvgpr_read_b32 v201, a1
	v_accvgpr_read_b32 v200, a4
	v_accvgpr_read_b32 v210, a8
	v_accvgpr_read_b32 v209, a7
	v_accvgpr_read_b32 v208, a6
	ds_write_b128 v20, v[4:7] offset:256
.LBB0_17:
	s_or_b64 exec, exec, s[24:25]
	s_waitcnt lgkmcnt(0)
	s_barrier
	ds_read_b128 v[0:3], v192
	ds_read_b128 v[4:7], v192 offset:1360
	ds_read_b128 v[8:11], v192 offset:2720
	;; [unrolled: 1-line block ×12, first 2 shown]
	s_waitcnt lgkmcnt(11)
	v_mul_f64 v[40:41], v[44:45], v[6:7]
	v_fmac_f64_e32 v[40:41], v[42:43], v[4:5]
	v_mul_f64 v[4:5], v[44:45], v[4:5]
	v_fma_f64 v[42:43], v[42:43], v[6:7], -v[4:5]
	s_waitcnt lgkmcnt(10)
	v_mul_f64 v[4:5], v[34:35], v[8:9]
	v_fma_f64 v[46:47], v[32:33], v[10:11], -v[4:5]
	s_waitcnt lgkmcnt(9)
	v_mul_f64 v[4:5], v[50:51], v[12:13]
	s_waitcnt lgkmcnt(2)
	v_mul_f64 v[28:29], v[66:67], v[124:125]
	v_mul_f64 v[44:45], v[34:35], v[10:11]
	v_fma_f64 v[34:35], v[48:49], v[14:15], -v[4:5]
	v_mul_f64 v[20:21], v[38:39], v[18:19]
	v_mul_f64 v[4:5], v[38:39], v[16:17]
	v_fma_f64 v[38:39], v[64:65], v[126:127], -v[28:29]
	s_waitcnt lgkmcnt(1)
	v_mul_f64 v[28:29], v[62:63], v[128:129]
	v_fmac_f64_e32 v[44:45], v[32:33], v[8:9]
	v_mul_f64 v[32:33], v[50:51], v[14:15]
	v_fma_f64 v[50:51], v[60:61], v[130:131], -v[28:29]
	s_waitcnt lgkmcnt(0)
	v_mul_f64 v[28:29], v[58:59], v[132:133]
	v_fmac_f64_e32 v[32:33], v[48:49], v[12:13]
	v_fma_f64 v[22:23], v[36:37], v[18:19], -v[4:5]
	v_mul_f64 v[12:13], v[54:55], v[106:107]
	v_mul_f64 v[4:5], v[54:55], v[104:105]
	v_fma_f64 v[54:55], v[56:57], v[134:135], -v[28:29]
	v_add_f64 v[28:29], v[0:1], v[40:41]
	v_accvgpr_read_b32 v8, a46
	v_add_f64 v[30:31], v[2:3], v[42:43]
	v_add_f64 v[28:29], v[28:29], v[44:45]
	v_fmac_f64_e32 v[20:21], v[36:37], v[16:17]
	v_accvgpr_read_b32 v10, a48
	v_accvgpr_read_b32 v11, a49
	v_accvgpr_read_b32 v16, a42
	v_add_f64 v[30:31], v[30:31], v[46:47]
	v_add_f64 v[28:29], v[28:29], v[32:33]
	v_fmac_f64_e32 v[12:13], v[52:53], v[104:105]
	v_fma_f64 v[14:15], v[52:53], v[106:107], -v[4:5]
	v_accvgpr_read_b32 v9, a47
	v_mul_f64 v[4:5], v[10:11], v[110:111]
	v_mul_f64 v[6:7], v[10:11], v[108:109]
	v_accvgpr_read_b32 v18, a44
	v_accvgpr_read_b32 v19, a45
	;; [unrolled: 1-line block ×3, first 2 shown]
	v_add_f64 v[30:31], v[30:31], v[34:35]
	v_add_f64 v[28:29], v[28:29], v[20:21]
	v_fmac_f64_e32 v[4:5], v[8:9], v[108:109]
	v_fma_f64 v[6:7], v[8:9], v[110:111], -v[6:7]
	v_accvgpr_read_b32 v17, a43
	v_mul_f64 v[8:9], v[18:19], v[114:115]
	v_mul_f64 v[10:11], v[18:19], v[112:113]
	v_accvgpr_read_b32 v26, a40
	v_accvgpr_read_b32 v27, a41
	v_add_f64 v[30:31], v[30:31], v[22:23]
	v_add_f64 v[28:29], v[28:29], v[12:13]
	v_fmac_f64_e32 v[8:9], v[16:17], v[112:113]
	v_fma_f64 v[10:11], v[16:17], v[114:115], -v[10:11]
	v_accvgpr_read_b32 v25, a39
	v_mul_f64 v[16:17], v[26:27], v[118:119]
	v_mul_f64 v[18:19], v[26:27], v[116:117]
	v_add_f64 v[30:31], v[30:31], v[14:15]
	v_add_f64 v[28:29], v[28:29], v[4:5]
	v_fmac_f64_e32 v[16:17], v[24:25], v[116:117]
	v_fma_f64 v[18:19], v[24:25], v[118:119], -v[18:19]
	v_mul_f64 v[24:25], v[70:71], v[122:123]
	v_add_f64 v[30:31], v[30:31], v[6:7]
	v_add_f64 v[28:29], v[28:29], v[8:9]
	v_fmac_f64_e32 v[24:25], v[68:69], v[120:121]
	v_mul_f64 v[26:27], v[70:71], v[120:121]
	v_mul_f64 v[36:37], v[66:67], v[126:127]
	v_add_f64 v[30:31], v[30:31], v[10:11]
	v_add_f64 v[28:29], v[28:29], v[16:17]
	v_fma_f64 v[26:27], v[68:69], v[122:123], -v[26:27]
	v_fmac_f64_e32 v[36:37], v[64:65], v[124:125]
	v_mul_f64 v[48:49], v[62:63], v[130:131]
	v_add_f64 v[30:31], v[30:31], v[18:19]
	v_add_f64 v[28:29], v[28:29], v[24:25]
	v_fmac_f64_e32 v[48:49], v[60:61], v[128:129]
	v_mul_f64 v[52:53], v[58:59], v[134:135]
	v_add_f64 v[30:31], v[30:31], v[26:27]
	v_add_f64 v[28:29], v[28:29], v[36:37]
	s_mov_b32 s24, 0x4267c47c
	s_mov_b32 s18, 0x42a4c3d2
	;; [unrolled: 1-line block ×6, first 2 shown]
	v_fmac_f64_e32 v[52:53], v[56:57], v[132:133]
	v_add_f64 v[30:31], v[30:31], v[38:39]
	v_add_f64 v[28:29], v[28:29], v[48:49]
	v_add_f64 v[58:59], v[42:43], v[54:55]
	v_add_f64 v[42:43], v[42:43], -v[54:55]
	s_mov_b32 s25, 0xbfddbe06
	s_mov_b32 s26, 0xe00740e9
	s_mov_b32 s19, 0xbfea55e2
	s_mov_b32 s20, 0x1ea71119
	s_mov_b32 s1, 0xbfefc445
	s_mov_b32 s6, 0xebaa3ed8
	s_mov_b32 s31, 0xbfedeba7
	s_mov_b32 s34, 0xb2365da1
	s_mov_b32 s39, 0xbfe5384d
	s_mov_b32 s40, 0xd0032e0c
	s_mov_b32 s45, 0xbfcea1e5
	s_mov_b32 s46, 0x93053d00
	v_add_f64 v[30:31], v[30:31], v[50:51]
	v_add_f64 v[28:29], v[28:29], v[52:53]
	;; [unrolled: 1-line block ×3, first 2 shown]
	v_add_f64 v[40:41], v[40:41], -v[52:53]
	v_mul_f64 v[52:53], v[42:43], s[24:25]
	s_mov_b32 s27, 0x3fec55a7
	v_mul_f64 v[64:65], v[42:43], s[18:19]
	s_mov_b32 s21, 0x3fe22d96
	;; [unrolled: 2-line block ×6, first 2 shown]
	v_add_f64 v[30:31], v[30:31], v[54:55]
	v_fma_f64 v[54:55], s[26:27], v[56:57], v[52:53]
	v_fma_f64 v[52:53], v[56:57], s[26:27], -v[52:53]
	v_fma_f64 v[66:67], s[20:21], v[56:57], v[64:65]
	v_fma_f64 v[64:65], v[56:57], s[20:21], -v[64:65]
	;; [unrolled: 2-line block ×6, first 2 shown]
	v_add_f64 v[54:55], v[0:1], v[54:55]
	v_mul_f64 v[60:61], v[58:59], s[26:27]
	s_mov_b32 s29, 0x3fddbe06
	s_mov_b32 s28, s24
	v_add_f64 v[52:53], v[0:1], v[52:53]
	v_add_f64 v[66:67], v[0:1], v[66:67]
	v_mul_f64 v[68:69], v[58:59], s[20:21]
	s_mov_b32 s23, 0x3fea55e2
	s_mov_b32 s22, s18
	v_add_f64 v[64:65], v[0:1], v[64:65]
	;; [unrolled: 5-line block ×6, first 2 shown]
	v_add_f64 v[42:43], v[46:47], v[50:51]
	v_add_f64 v[46:47], v[46:47], -v[50:51]
	v_fma_f64 v[62:63], s[28:29], v[40:41], v[60:61]
	v_fmac_f64_e32 v[60:61], s[24:25], v[40:41]
	v_fma_f64 v[70:71], s[22:23], v[40:41], v[68:69]
	v_fmac_f64_e32 v[68:69], s[18:19], v[40:41]
	;; [unrolled: 2-line block ×6, first 2 shown]
	v_add_f64 v[40:41], v[44:45], v[48:49]
	v_add_f64 v[44:45], v[44:45], -v[48:49]
	v_mul_f64 v[48:49], v[46:47], s[18:19]
	v_fma_f64 v[50:51], s[20:21], v[40:41], v[48:49]
	v_add_f64 v[50:51], v[50:51], v[54:55]
	v_mul_f64 v[54:55], v[42:43], s[20:21]
	v_add_f64 v[60:61], v[2:3], v[60:61]
	v_fma_f64 v[56:57], s[22:23], v[44:45], v[54:55]
	v_fma_f64 v[48:49], v[40:41], s[20:21], -v[48:49]
	v_fmac_f64_e32 v[54:55], s[18:19], v[44:45]
	v_add_f64 v[48:49], v[48:49], v[52:53]
	v_add_f64 v[52:53], v[54:55], v[60:61]
	v_mul_f64 v[54:55], v[46:47], s[30:31]
	v_add_f64 v[62:63], v[2:3], v[62:63]
	v_add_f64 v[70:71], v[2:3], v[70:71]
	v_add_f64 v[68:69], v[2:3], v[68:69]
	v_add_f64 v[110:111], v[2:3], v[110:111]
	v_add_f64 v[108:109], v[2:3], v[108:109]
	v_add_f64 v[118:119], v[2:3], v[118:119]
	v_add_f64 v[116:117], v[2:3], v[116:117]
	v_add_f64 v[126:127], v[2:3], v[126:127]
	v_add_f64 v[124:125], v[2:3], v[124:125]
	v_add_f64 v[130:131], v[2:3], v[130:131]
	v_add_f64 v[2:3], v[2:3], v[58:59]
	v_fma_f64 v[58:59], s[34:35], v[40:41], v[54:55]
	v_mul_f64 v[60:61], v[42:43], s[34:35]
	v_fma_f64 v[54:55], v[40:41], s[34:35], -v[54:55]
	v_add_f64 v[56:57], v[56:57], v[62:63]
	v_fma_f64 v[62:63], s[36:37], v[44:45], v[60:61]
	v_add_f64 v[54:55], v[54:55], v[64:65]
	v_fmac_f64_e32 v[60:61], s[30:31], v[44:45]
	v_mul_f64 v[64:65], v[46:47], s[44:45]
	v_add_f64 v[58:59], v[58:59], v[66:67]
	v_add_f64 v[60:61], v[60:61], v[68:69]
	v_fma_f64 v[66:67], s[46:47], v[40:41], v[64:65]
	v_mul_f64 v[68:69], v[42:43], s[46:47]
	v_fma_f64 v[64:65], v[40:41], s[46:47], -v[64:65]
	v_add_f64 v[62:63], v[62:63], v[70:71]
	v_fma_f64 v[70:71], s[48:49], v[44:45], v[68:69]
	v_add_f64 v[64:65], v[64:65], v[104:105]
	v_fmac_f64_e32 v[68:69], s[44:45], v[44:45]
	v_mul_f64 v[104:105], v[46:47], s[42:43]
	v_add_f64 v[66:67], v[66:67], v[106:107]
	v_add_f64 v[68:69], v[68:69], v[108:109]
	;; [unrolled: 10-line block ×3, first 2 shown]
	v_fma_f64 v[114:115], s[6:7], v[40:41], v[112:113]
	v_mul_f64 v[116:117], v[42:43], s[6:7]
	v_mul_f64 v[42:43], v[42:43], s[26:27]
	v_add_f64 v[114:115], v[114:115], v[122:123]
	v_fma_f64 v[112:113], v[40:41], s[6:7], -v[112:113]
	v_mul_f64 v[46:47], v[46:47], s[28:29]
	v_fma_f64 v[122:123], s[24:25], v[44:45], v[42:43]
	v_fmac_f64_e32 v[42:43], s[28:29], v[44:45]
	v_add_f64 v[112:113], v[112:113], v[120:121]
	v_fma_f64 v[120:121], s[26:27], v[40:41], v[46:47]
	v_fma_f64 v[40:41], v[40:41], s[26:27], -v[46:47]
	v_add_f64 v[2:3], v[42:43], v[2:3]
	v_add_f64 v[42:43], v[34:35], v[38:39]
	v_add_f64 v[34:35], v[34:35], -v[38:39]
	v_add_f64 v[0:1], v[40:41], v[0:1]
	v_add_f64 v[40:41], v[32:33], v[36:37]
	v_add_f64 v[32:33], v[32:33], -v[36:37]
	v_mul_f64 v[36:37], v[34:35], s[0:1]
	v_fma_f64 v[38:39], s[6:7], v[40:41], v[36:37]
	v_fma_f64 v[36:37], v[40:41], s[6:7], -v[36:37]
	v_add_f64 v[36:37], v[36:37], v[48:49]
	v_mul_f64 v[48:49], v[34:35], s[44:45]
	v_add_f64 v[110:111], v[110:111], v[118:119]
	v_fma_f64 v[118:119], s[0:1], v[44:45], v[116:117]
	v_fmac_f64_e32 v[116:117], s[16:17], v[44:45]
	v_add_f64 v[38:39], v[38:39], v[50:51]
	v_mul_f64 v[44:45], v[42:43], s[6:7]
	v_fma_f64 v[50:51], s[46:47], v[40:41], v[48:49]
	v_fma_f64 v[48:49], v[40:41], s[46:47], -v[48:49]
	v_fma_f64 v[46:47], s[16:17], v[32:33], v[44:45]
	v_fmac_f64_e32 v[44:45], s[0:1], v[32:33]
	v_add_f64 v[48:49], v[48:49], v[54:55]
	v_mul_f64 v[54:55], v[34:35], s[36:37]
	v_add_f64 v[44:45], v[44:45], v[52:53]
	v_add_f64 v[50:51], v[50:51], v[58:59]
	v_mul_f64 v[52:53], v[42:43], s[46:47]
	v_fma_f64 v[58:59], s[34:35], v[40:41], v[54:55]
	v_fma_f64 v[54:55], v[40:41], s[34:35], -v[54:55]
	v_add_f64 v[46:47], v[46:47], v[56:57]
	v_fma_f64 v[56:57], s[48:49], v[32:33], v[52:53]
	v_fmac_f64_e32 v[52:53], s[44:45], v[32:33]
	v_add_f64 v[54:55], v[54:55], v[64:65]
	v_mul_f64 v[64:65], v[34:35], s[28:29]
	v_add_f64 v[52:53], v[52:53], v[60:61]
	v_add_f64 v[58:59], v[58:59], v[66:67]
	v_mul_f64 v[60:61], v[42:43], s[34:35]
	v_fma_f64 v[66:67], s[26:27], v[40:41], v[64:65]
	v_fma_f64 v[64:65], v[40:41], s[26:27], -v[64:65]
	v_add_f64 v[56:57], v[56:57], v[62:63]
	v_fma_f64 v[62:63], s[30:31], v[32:33], v[60:61]
	v_fmac_f64_e32 v[60:61], s[36:37], v[32:33]
	v_add_f64 v[64:65], v[64:65], v[104:105]
	v_mul_f64 v[104:105], v[34:35], s[18:19]
	v_add_f64 v[60:61], v[60:61], v[68:69]
	v_add_f64 v[66:67], v[66:67], v[106:107]
	v_mul_f64 v[68:69], v[42:43], s[26:27]
	v_fma_f64 v[106:107], s[20:21], v[40:41], v[104:105]
	v_fma_f64 v[104:105], v[40:41], s[20:21], -v[104:105]
	v_mul_f64 v[34:35], v[34:35], s[38:39]
	v_add_f64 v[62:63], v[62:63], v[70:71]
	v_fma_f64 v[70:71], s[24:25], v[32:33], v[68:69]
	v_fmac_f64_e32 v[68:69], s[28:29], v[32:33]
	v_add_f64 v[104:105], v[104:105], v[112:113]
	v_fma_f64 v[112:113], s[40:41], v[40:41], v[34:35]
	v_fma_f64 v[34:35], v[40:41], s[40:41], -v[34:35]
	v_add_f64 v[68:69], v[68:69], v[108:109]
	v_mul_f64 v[108:109], v[42:43], s[20:21]
	v_mul_f64 v[42:43], v[42:43], s[40:41]
	v_add_f64 v[0:1], v[34:35], v[0:1]
	v_add_f64 v[34:35], v[22:23], v[26:27]
	v_add_f64 v[22:23], v[22:23], -v[26:27]
	v_add_f64 v[70:71], v[70:71], v[110:111]
	v_add_f64 v[106:107], v[106:107], v[114:115]
	v_fma_f64 v[110:111], s[22:23], v[32:33], v[108:109]
	v_fmac_f64_e32 v[108:109], s[18:19], v[32:33]
	v_fma_f64 v[114:115], s[42:43], v[32:33], v[42:43]
	v_fmac_f64_e32 v[42:43], s[38:39], v[32:33]
	v_add_f64 v[32:33], v[20:21], v[24:25]
	v_add_f64 v[20:21], v[20:21], -v[24:25]
	v_mul_f64 v[24:25], v[22:23], s[30:31]
	v_fma_f64 v[26:27], s[34:35], v[32:33], v[24:25]
	v_add_f64 v[26:27], v[26:27], v[38:39]
	v_mul_f64 v[38:39], v[34:35], s[34:35]
	v_fma_f64 v[40:41], s[36:37], v[20:21], v[38:39]
	v_fma_f64 v[24:25], v[32:33], s[34:35], -v[24:25]
	v_fmac_f64_e32 v[38:39], s[30:31], v[20:21]
	v_add_f64 v[24:25], v[24:25], v[36:37]
	v_add_f64 v[36:37], v[38:39], v[44:45]
	v_mul_f64 v[38:39], v[22:23], s[42:43]
	v_add_f64 v[2:3], v[42:43], v[2:3]
	v_fma_f64 v[42:43], s[40:41], v[32:33], v[38:39]
	v_fma_f64 v[38:39], v[32:33], s[40:41], -v[38:39]
	v_add_f64 v[38:39], v[38:39], v[48:49]
	v_mul_f64 v[48:49], v[22:23], s[28:29]
	v_add_f64 v[42:43], v[42:43], v[50:51]
	v_mul_f64 v[44:45], v[34:35], s[40:41]
	v_fma_f64 v[50:51], s[26:27], v[32:33], v[48:49]
	v_fma_f64 v[48:49], v[32:33], s[26:27], -v[48:49]
	v_add_f64 v[40:41], v[40:41], v[46:47]
	v_fma_f64 v[46:47], s[38:39], v[20:21], v[44:45]
	v_fmac_f64_e32 v[44:45], s[42:43], v[20:21]
	v_add_f64 v[48:49], v[48:49], v[54:55]
	v_mul_f64 v[54:55], v[22:23], s[0:1]
	v_add_f64 v[44:45], v[44:45], v[52:53]
	v_add_f64 v[50:51], v[50:51], v[58:59]
	v_mul_f64 v[52:53], v[34:35], s[26:27]
	v_fma_f64 v[58:59], s[6:7], v[32:33], v[54:55]
	v_fma_f64 v[54:55], v[32:33], s[6:7], -v[54:55]
	v_add_f64 v[46:47], v[46:47], v[56:57]
	v_fma_f64 v[56:57], s[24:25], v[20:21], v[52:53]
	v_fmac_f64_e32 v[52:53], s[28:29], v[20:21]
	v_add_f64 v[54:55], v[54:55], v[64:65]
	v_mul_f64 v[64:65], v[22:23], s[48:49]
	v_add_f64 v[52:53], v[52:53], v[60:61]
	v_add_f64 v[58:59], v[58:59], v[66:67]
	v_mul_f64 v[60:61], v[34:35], s[6:7]
	v_fma_f64 v[66:67], s[46:47], v[32:33], v[64:65]
	v_fma_f64 v[64:65], v[32:33], s[46:47], -v[64:65]
	v_mul_f64 v[22:23], v[22:23], s[22:23]
	v_add_f64 v[56:57], v[56:57], v[62:63]
	v_fma_f64 v[62:63], s[16:17], v[20:21], v[60:61]
	v_fmac_f64_e32 v[60:61], s[0:1], v[20:21]
	v_add_f64 v[64:65], v[64:65], v[104:105]
	v_fma_f64 v[104:105], s[20:21], v[32:33], v[22:23]
	v_fma_f64 v[22:23], v[32:33], s[20:21], -v[22:23]
	v_add_f64 v[60:61], v[60:61], v[68:69]
	v_mul_f64 v[68:69], v[34:35], s[46:47]
	v_mul_f64 v[34:35], v[34:35], s[20:21]
	v_add_f64 v[0:1], v[22:23], v[0:1]
	v_add_f64 v[22:23], v[14:15], v[18:19]
	v_add_f64 v[14:15], v[14:15], -v[18:19]
	v_add_f64 v[62:63], v[62:63], v[70:71]
	v_add_f64 v[66:67], v[66:67], v[106:107]
	v_fma_f64 v[70:71], s[44:45], v[20:21], v[68:69]
	v_fmac_f64_e32 v[68:69], s[48:49], v[20:21]
	v_fma_f64 v[106:107], s[18:19], v[20:21], v[34:35]
	v_fmac_f64_e32 v[34:35], s[22:23], v[20:21]
	v_add_f64 v[20:21], v[12:13], v[16:17]
	v_add_f64 v[12:13], v[12:13], -v[16:17]
	v_mul_f64 v[16:17], v[14:15], s[38:39]
	v_fma_f64 v[18:19], s[40:41], v[20:21], v[16:17]
	v_fma_f64 v[16:17], v[20:21], s[40:41], -v[16:17]
	v_add_f64 v[18:19], v[18:19], v[26:27]
	v_mul_f64 v[26:27], v[22:23], s[40:41]
	v_add_f64 v[16:17], v[16:17], v[24:25]
	v_mul_f64 v[24:25], v[14:15], s[16:17]
	v_add_f64 v[2:3], v[34:35], v[2:3]
	v_fma_f64 v[32:33], s[42:43], v[12:13], v[26:27]
	v_fmac_f64_e32 v[26:27], s[38:39], v[12:13]
	v_fma_f64 v[34:35], s[6:7], v[20:21], v[24:25]
	v_fma_f64 v[24:25], v[20:21], s[6:7], -v[24:25]
	v_add_f64 v[26:27], v[26:27], v[36:37]
	v_mul_f64 v[36:37], v[22:23], s[6:7]
	v_add_f64 v[38:39], v[24:25], v[38:39]
	v_mul_f64 v[24:25], v[14:15], s[18:19]
	v_add_f64 v[32:33], v[32:33], v[40:41]
	v_add_f64 v[34:35], v[34:35], v[42:43]
	v_fma_f64 v[40:41], s[0:1], v[12:13], v[36:37]
	v_fmac_f64_e32 v[36:37], s[16:17], v[12:13]
	v_fma_f64 v[42:43], s[20:21], v[20:21], v[24:25]
	v_fma_f64 v[24:25], v[20:21], s[20:21], -v[24:25]
	v_add_f64 v[36:37], v[36:37], v[44:45]
	v_mul_f64 v[44:45], v[22:23], s[20:21]
	v_add_f64 v[48:49], v[24:25], v[48:49]
	v_mul_f64 v[24:25], v[14:15], s[48:49]
	v_add_f64 v[40:41], v[40:41], v[46:47]
	v_add_f64 v[42:43], v[42:43], v[50:51]
	v_fma_f64 v[46:47], s[22:23], v[12:13], v[44:45]
	v_fmac_f64_e32 v[44:45], s[18:19], v[12:13]
	v_fma_f64 v[50:51], s[46:47], v[20:21], v[24:25]
	v_fma_f64 v[24:25], v[20:21], s[46:47], -v[24:25]
	v_add_f64 v[120:121], v[120:121], v[128:129]
	v_add_f64 v[44:45], v[44:45], v[52:53]
	v_mul_f64 v[52:53], v[22:23], s[46:47]
	v_add_f64 v[54:55], v[24:25], v[54:55]
	v_mul_f64 v[24:25], v[14:15], s[28:29]
	v_add_f64 v[118:119], v[118:119], v[126:127]
	v_add_f64 v[116:117], v[116:117], v[124:125]
	;; [unrolled: 1-line block ×6, first 2 shown]
	v_fma_f64 v[56:57], s[44:45], v[12:13], v[52:53]
	v_fmac_f64_e32 v[52:53], s[48:49], v[12:13]
	v_fma_f64 v[58:59], s[26:27], v[20:21], v[24:25]
	v_fma_f64 v[24:25], v[20:21], s[26:27], -v[24:25]
	v_mul_f64 v[14:15], v[14:15], s[30:31]
	v_add_f64 v[110:111], v[110:111], v[118:119]
	v_add_f64 v[108:109], v[108:109], v[116:117]
	;; [unrolled: 1-line block ×5, first 2 shown]
	v_mul_f64 v[60:61], v[22:23], s[26:27]
	v_add_f64 v[64:65], v[24:25], v[64:65]
	v_fma_f64 v[24:25], s[34:35], v[20:21], v[14:15]
	v_mul_f64 v[22:23], v[22:23], s[34:35]
	v_add_f64 v[70:71], v[70:71], v[110:111]
	v_add_f64 v[68:69], v[68:69], v[108:109]
	;; [unrolled: 1-line block ×5, first 2 shown]
	v_fma_f64 v[62:63], s[24:25], v[12:13], v[60:61]
	v_fmac_f64_e32 v[60:61], s[28:29], v[12:13]
	v_add_f64 v[66:67], v[24:25], v[104:105]
	v_fma_f64 v[24:25], s[36:37], v[12:13], v[22:23]
	v_fma_f64 v[14:15], v[20:21], s[34:35], -v[14:15]
	v_add_f64 v[112:113], v[6:7], -v[10:11]
	v_add_f64 v[62:63], v[62:63], v[70:71]
	v_add_f64 v[60:61], v[60:61], v[68:69]
	;; [unrolled: 1-line block ×4, first 2 shown]
	v_fmac_f64_e32 v[22:23], s[30:31], v[12:13]
	v_add_f64 v[106:107], v[4:5], v[8:9]
	v_mul_f64 v[0:1], v[112:113], s[44:45]
	v_add_f64 v[104:105], v[22:23], v[2:3]
	v_add_f64 v[108:109], v[6:7], v[10:11]
	v_fma_f64 v[2:3], s[46:47], v[106:107], v[0:1]
	v_add_f64 v[110:111], v[4:5], -v[8:9]
	v_add_f64 v[8:9], v[2:3], v[18:19]
	v_mul_f64 v[2:3], v[108:109], s[46:47]
	v_fma_f64 v[0:1], v[106:107], s[46:47], -v[0:1]
	v_fma_f64 v[4:5], s[48:49], v[110:111], v[2:3]
	v_add_f64 v[24:25], v[0:1], v[16:17]
	v_fmac_f64_e32 v[2:3], s[44:45], v[110:111]
	v_mul_f64 v[0:1], v[112:113], s[28:29]
	v_add_f64 v[26:27], v[2:3], v[26:27]
	v_fma_f64 v[2:3], s[26:27], v[106:107], v[0:1]
	v_add_f64 v[12:13], v[2:3], v[34:35]
	v_mul_f64 v[2:3], v[108:109], s[26:27]
	v_add_f64 v[10:11], v[4:5], v[32:33]
	v_fma_f64 v[4:5], s[24:25], v[110:111], v[2:3]
	v_fma_f64 v[0:1], v[106:107], s[26:27], -v[0:1]
	v_add_f64 v[14:15], v[4:5], v[40:41]
	v_add_f64 v[4:5], v[0:1], v[38:39]
	v_fmac_f64_e32 v[2:3], s[28:29], v[110:111]
	v_mul_f64 v[0:1], v[112:113], s[38:39]
	v_add_f64 v[6:7], v[2:3], v[36:37]
	v_fma_f64 v[2:3], s[40:41], v[106:107], v[0:1]
	v_mul_f64 v[32:33], v[112:113], s[22:23]
	v_add_f64 v[16:17], v[2:3], v[42:43]
	v_mul_f64 v[2:3], v[108:109], s[40:41]
	v_fma_f64 v[0:1], v[106:107], s[40:41], -v[0:1]
	v_fma_f64 v[20:21], s[20:21], v[106:107], v[32:33]
	v_fma_f64 v[18:19], s[42:43], v[110:111], v[2:3]
	v_add_f64 v[0:1], v[0:1], v[48:49]
	v_fmac_f64_e32 v[2:3], s[38:39], v[110:111]
	v_add_f64 v[20:21], v[20:21], v[50:51]
	v_mul_f64 v[34:35], v[108:109], s[20:21]
	v_mul_f64 v[40:41], v[112:113], s[30:31]
	;; [unrolled: 1-line block ×5, first 2 shown]
	v_add_f64 v[18:19], v[18:19], v[46:47]
	v_add_f64 v[2:3], v[2:3], v[44:45]
	v_fma_f64 v[22:23], s[18:19], v[110:111], v[34:35]
	v_fma_f64 v[32:33], v[106:107], s[20:21], -v[32:33]
	v_fmac_f64_e32 v[34:35], s[22:23], v[110:111]
	v_fma_f64 v[36:37], s[34:35], v[106:107], v[40:41]
	v_fma_f64 v[38:39], s[36:37], v[110:111], v[42:43]
	v_fma_f64 v[40:41], v[106:107], s[34:35], -v[40:41]
	v_fmac_f64_e32 v[42:43], s[30:31], v[110:111]
	v_fma_f64 v[44:45], s[6:7], v[106:107], v[48:49]
	v_fma_f64 v[46:47], s[0:1], v[110:111], v[50:51]
	v_fma_f64 v[48:49], v[106:107], s[6:7], -v[48:49]
	v_fmac_f64_e32 v[50:51], s[16:17], v[110:111]
	v_add_f64 v[32:33], v[32:33], v[54:55]
	v_add_f64 v[34:35], v[34:35], v[52:53]
	;; [unrolled: 1-line block ×11, first 2 shown]
	s_barrier
	ds_write_b128 v193, v[28:31]
	ds_write_b128 v193, v[8:11] offset:272
	ds_write_b128 v193, v[12:15] offset:544
	;; [unrolled: 1-line block ×12, first 2 shown]
	s_waitcnt lgkmcnt(0)
	s_barrier
	ds_read_b128 v[32:35], v192
	ds_read_b128 v[28:31], v192 offset:1360
	ds_read_b128 v[64:67], v192 offset:3536
	ds_read_b128 v[48:51], v192 offset:4896
	ds_read_b128 v[60:63], v192 offset:7072
	ds_read_b128 v[44:47], v192 offset:8432
	ds_read_b128 v[56:59], v192 offset:10608
	ds_read_b128 v[40:43], v192 offset:11968
	ds_read_b128 v[52:55], v192 offset:14144
	ds_read_b128 v[36:39], v192 offset:15504
	v_add_u32_e32 v8, 0x550, v197
	s_and_saveexec_b64 s[0:1], s[2:3]
	s_cbranch_execz .LBB0_19
; %bb.18:
	ds_read_b128 v[0:3], v192 offset:2720
	ds_read_b128 v[4:7], v192 offset:6256
	;; [unrolled: 1-line block ×5, first 2 shown]
.LBB0_19:
	s_or_b64 exec, exec, s[0:1]
	s_waitcnt lgkmcnt(7)
	v_mul_f64 v[20:21], v[86:87], v[66:67]
	v_mul_f64 v[10:11], v[86:87], v[64:65]
	v_fmac_f64_e32 v[20:21], v[84:85], v[64:65]
	v_fma_f64 v[22:23], v[84:85], v[66:67], -v[10:11]
	s_waitcnt lgkmcnt(5)
	v_mul_f64 v[64:65], v[82:83], v[62:63]
	v_mul_f64 v[10:11], v[82:83], v[60:61]
	v_fmac_f64_e32 v[64:65], v[80:81], v[60:61]
	v_fma_f64 v[60:61], v[80:81], v[62:63], -v[10:11]
	;; [unrolled: 5-line block ×4, first 2 shown]
	v_mul_f64 v[10:11], v[102:103], v[48:49]
	v_fma_f64 v[66:67], v[100:101], v[50:51], -v[10:11]
	v_mul_f64 v[10:11], v[98:99], v[44:45]
	v_fma_f64 v[70:71], v[96:97], v[46:47], -v[10:11]
	v_mul_f64 v[10:11], v[94:95], v[40:41]
	v_add_f64 v[12:13], v[64:65], v[62:63]
	s_mov_b32 s0, 0x134454ff
	v_mul_f64 v[54:55], v[102:103], v[50:51]
	v_fma_f64 v[74:75], v[92:93], v[42:43], -v[10:11]
	s_waitcnt lgkmcnt(0)
	v_mul_f64 v[50:51], v[90:91], v[38:39]
	v_mul_f64 v[10:11], v[90:91], v[36:37]
	v_fma_f64 v[14:15], -0.5, v[12:13], v[32:33]
	v_add_f64 v[12:13], v[22:23], -v[52:53]
	s_mov_b32 s1, 0xbfee6f0e
	s_mov_b32 s6, 0x4755a5e
	;; [unrolled: 1-line block ×4, first 2 shown]
	v_fmac_f64_e32 v[50:51], v[88:89], v[36:37]
	v_fma_f64 v[76:77], v[88:89], v[38:39], -v[10:11]
	v_fma_f64 v[18:19], s[0:1], v[12:13], v[14:15]
	v_add_f64 v[16:17], v[60:61], -v[56:57]
	s_mov_b32 s7, 0xbfe2cf23
	v_add_f64 v[36:37], v[20:21], -v[64:65]
	v_add_f64 v[38:39], v[58:59], -v[62:63]
	s_mov_b32 s16, 0x372fe950
	v_fmac_f64_e32 v[14:15], s[18:19], v[12:13]
	s_mov_b32 s21, 0x3fe2cf23
	s_mov_b32 s20, s6
	v_fmac_f64_e32 v[18:19], s[6:7], v[16:17]
	v_add_f64 v[36:37], v[36:37], v[38:39]
	s_mov_b32 s17, 0x3fd3c6ef
	v_fmac_f64_e32 v[14:15], s[20:21], v[16:17]
	v_fmac_f64_e32 v[18:19], s[16:17], v[36:37]
	;; [unrolled: 1-line block ×3, first 2 shown]
	v_add_f64 v[36:37], v[20:21], v[58:59]
	v_mul_f64 v[72:73], v[94:95], v[42:43]
	v_add_f64 v[10:11], v[32:33], v[20:21]
	v_fmac_f64_e32 v[32:33], -0.5, v[36:37]
	v_fmac_f64_e32 v[72:73], v[92:93], v[40:41]
	v_fma_f64 v[36:37], s[18:19], v[16:17], v[32:33]
	v_add_f64 v[38:39], v[64:65], -v[20:21]
	v_add_f64 v[40:41], v[62:63], -v[58:59]
	v_fmac_f64_e32 v[32:33], s[0:1], v[16:17]
	v_add_f64 v[16:17], v[60:61], v[56:57]
	v_mul_f64 v[68:69], v[98:99], v[46:47]
	v_fmac_f64_e32 v[36:37], s[6:7], v[12:13]
	v_add_f64 v[38:39], v[38:39], v[40:41]
	v_fmac_f64_e32 v[32:33], s[20:21], v[12:13]
	v_fma_f64 v[16:17], -0.5, v[16:17], v[34:35]
	v_add_f64 v[40:41], v[20:21], -v[58:59]
	v_fmac_f64_e32 v[68:69], v[96:97], v[44:45]
	v_fmac_f64_e32 v[36:37], s[16:17], v[38:39]
	;; [unrolled: 1-line block ×3, first 2 shown]
	v_fma_f64 v[20:21], s[18:19], v[40:41], v[16:17]
	v_add_f64 v[42:43], v[64:65], -v[62:63]
	v_add_f64 v[38:39], v[22:23], -v[60:61]
	;; [unrolled: 1-line block ×3, first 2 shown]
	v_fmac_f64_e32 v[16:17], s[0:1], v[40:41]
	v_fmac_f64_e32 v[20:21], s[20:21], v[42:43]
	v_add_f64 v[38:39], v[38:39], v[44:45]
	v_fmac_f64_e32 v[16:17], s[6:7], v[42:43]
	v_fmac_f64_e32 v[20:21], s[16:17], v[38:39]
	;; [unrolled: 1-line block ×3, first 2 shown]
	v_add_f64 v[38:39], v[22:23], v[52:53]
	v_add_f64 v[12:13], v[34:35], v[22:23]
	v_fmac_f64_e32 v[34:35], -0.5, v[38:39]
	v_fma_f64 v[38:39], s[0:1], v[42:43], v[34:35]
	v_add_f64 v[22:23], v[60:61], -v[22:23]
	v_add_f64 v[44:45], v[56:57], -v[52:53]
	v_fmac_f64_e32 v[34:35], s[18:19], v[42:43]
	v_fmac_f64_e32 v[54:55], v[100:101], v[48:49]
	;; [unrolled: 1-line block ×3, first 2 shown]
	v_add_f64 v[22:23], v[22:23], v[44:45]
	v_fmac_f64_e32 v[34:35], s[6:7], v[40:41]
	v_fmac_f64_e32 v[38:39], s[16:17], v[22:23]
	;; [unrolled: 1-line block ×3, first 2 shown]
	v_add_f64 v[22:23], v[28:29], v[54:55]
	v_add_f64 v[22:23], v[22:23], v[68:69]
	;; [unrolled: 1-line block ×7, first 2 shown]
	v_fma_f64 v[44:45], -0.5, v[22:23], v[28:29]
	v_add_f64 v[22:23], v[66:67], -v[76:77]
	v_add_f64 v[12:13], v[12:13], v[52:53]
	v_fma_f64 v[48:49], s[0:1], v[22:23], v[44:45]
	v_add_f64 v[42:43], v[70:71], -v[74:75]
	v_add_f64 v[46:47], v[54:55], -v[68:69]
	;; [unrolled: 1-line block ×3, first 2 shown]
	v_fmac_f64_e32 v[44:45], s[18:19], v[22:23]
	v_fmac_f64_e32 v[48:49], s[6:7], v[42:43]
	v_add_f64 v[46:47], v[46:47], v[52:53]
	v_fmac_f64_e32 v[44:45], s[20:21], v[42:43]
	v_fmac_f64_e32 v[48:49], s[16:17], v[46:47]
	;; [unrolled: 1-line block ×3, first 2 shown]
	v_add_f64 v[46:47], v[54:55], v[50:51]
	v_fmac_f64_e32 v[28:29], -0.5, v[46:47]
	v_fma_f64 v[52:53], s[18:19], v[42:43], v[28:29]
	v_fmac_f64_e32 v[28:29], s[0:1], v[42:43]
	v_fmac_f64_e32 v[52:53], s[6:7], v[22:23]
	;; [unrolled: 1-line block ×3, first 2 shown]
	v_add_f64 v[22:23], v[30:31], v[66:67]
	v_add_f64 v[22:23], v[22:23], v[70:71]
	v_add_f64 v[46:47], v[68:69], -v[54:55]
	v_add_f64 v[56:57], v[72:73], -v[50:51]
	v_add_f64 v[22:23], v[22:23], v[74:75]
	v_add_f64 v[10:11], v[10:11], v[64:65]
	;; [unrolled: 1-line block ×6, first 2 shown]
	v_fmac_f64_e32 v[52:53], s[16:17], v[46:47]
	v_fmac_f64_e32 v[28:29], s[16:17], v[46:47]
	v_fma_f64 v[46:47], -0.5, v[22:23], v[30:31]
	v_add_f64 v[22:23], v[54:55], -v[50:51]
	v_add_f64 v[10:11], v[10:11], v[58:59]
	v_fma_f64 v[50:51], s[18:19], v[22:23], v[46:47]
	v_add_f64 v[56:57], v[68:69], -v[72:73]
	v_add_f64 v[54:55], v[66:67], -v[70:71]
	v_add_f64 v[58:59], v[76:77], -v[74:75]
	v_fmac_f64_e32 v[46:47], s[0:1], v[22:23]
	v_fmac_f64_e32 v[50:51], s[20:21], v[56:57]
	v_add_f64 v[54:55], v[54:55], v[58:59]
	v_fmac_f64_e32 v[46:47], s[6:7], v[56:57]
	v_fmac_f64_e32 v[50:51], s[16:17], v[54:55]
	;; [unrolled: 1-line block ×3, first 2 shown]
	v_add_f64 v[54:55], v[66:67], v[76:77]
	v_fmac_f64_e32 v[30:31], -0.5, v[54:55]
	v_fma_f64 v[54:55], s[0:1], v[56:57], v[30:31]
	v_add_f64 v[58:59], v[70:71], -v[66:67]
	v_add_f64 v[60:61], v[74:75], -v[76:77]
	v_fmac_f64_e32 v[30:31], s[18:19], v[56:57]
	v_fmac_f64_e32 v[54:55], s[20:21], v[22:23]
	v_add_f64 v[58:59], v[58:59], v[60:61]
	v_fmac_f64_e32 v[30:31], s[6:7], v[22:23]
	v_fmac_f64_e32 v[54:55], s[16:17], v[58:59]
	;; [unrolled: 1-line block ×3, first 2 shown]
	ds_write_b128 v196, v[10:13]
	ds_write_b128 v196, v[18:21] offset:3536
	ds_write_b128 v196, v[36:39] offset:7072
	;; [unrolled: 1-line block ×9, first 2 shown]
	v_lshl_add_u32 v8, v201, 4, v194
	s_and_saveexec_b64 s[22:23], s[2:3]
	s_cbranch_execz .LBB0_21
; %bb.20:
	v_accvgpr_read_b32 v37, a21
	v_accvgpr_read_b32 v33, a17
	;; [unrolled: 1-line block ×6, first 2 shown]
	v_mul_f64 v[10:11], v[36:37], v[24:25]
	v_accvgpr_read_b32 v31, a15
	v_accvgpr_read_b32 v30, a14
	v_mul_f64 v[16:17], v[32:33], v[168:169]
	v_fma_f64 v[14:15], v[34:35], v[26:27], -v[10:11]
	v_mul_f64 v[10:11], v[214:215], v[4:5]
	v_fma_f64 v[18:19], v[30:31], v[170:171], -v[16:17]
	;; [unrolled: 2-line block ×3, first 2 shown]
	v_fma_f64 v[22:23], v[208:209], v[166:167], -v[16:17]
	v_add_f64 v[12:13], v[14:15], -v[10:11]
	v_add_f64 v[16:17], v[18:19], -v[22:23]
	v_mul_f64 v[26:27], v[36:37], v[26:27]
	v_mul_f64 v[28:29], v[32:33], v[170:171]
	v_add_f64 v[20:21], v[12:13], v[16:17]
	v_fmac_f64_e32 v[26:27], v[34:35], v[24:25]
	v_fmac_f64_e32 v[28:29], v[30:31], v[168:169]
	v_add_f64 v[12:13], v[10:11], v[22:23]
	v_mul_f64 v[6:7], v[214:215], v[6:7]
	v_mul_f64 v[30:31], v[210:211], v[166:167]
	v_add_f64 v[24:25], v[26:27], -v[28:29]
	v_fma_f64 v[12:13], -0.5, v[12:13], v[2:3]
	v_fmac_f64_e32 v[6:7], v[212:213], v[4:5]
	v_fmac_f64_e32 v[30:31], v[208:209], v[164:165]
	v_fma_f64 v[16:17], s[18:19], v[24:25], v[12:13]
	v_add_f64 v[32:33], v[6:7], -v[30:31]
	v_fmac_f64_e32 v[12:13], s[0:1], v[24:25]
	v_fmac_f64_e32 v[16:17], s[6:7], v[32:33]
	v_fmac_f64_e32 v[12:13], s[20:21], v[32:33]
	v_fmac_f64_e32 v[16:17], s[16:17], v[20:21]
	v_fmac_f64_e32 v[12:13], s[16:17], v[20:21]
	v_add_f64 v[4:5], v[10:11], -v[14:15]
	v_add_f64 v[20:21], v[22:23], -v[18:19]
	v_add_f64 v[34:35], v[4:5], v[20:21]
	v_add_f64 v[4:5], v[14:15], v[18:19]
	v_fma_f64 v[4:5], -0.5, v[4:5], v[2:3]
	v_add_f64 v[2:3], v[2:3], v[10:11]
	v_add_f64 v[2:3], v[2:3], v[14:15]
	v_fma_f64 v[20:21], s[0:1], v[32:33], v[4:5]
	v_fmac_f64_e32 v[4:5], s[18:19], v[32:33]
	v_add_f64 v[2:3], v[2:3], v[18:19]
	v_fmac_f64_e32 v[20:21], s[6:7], v[24:25]
	v_fmac_f64_e32 v[4:5], s[20:21], v[24:25]
	v_add_f64 v[24:25], v[2:3], v[22:23]
	v_add_f64 v[2:3], v[26:27], -v[6:7]
	v_add_f64 v[32:33], v[28:29], -v[30:31]
	v_add_f64 v[22:23], v[10:11], -v[22:23]
	v_add_f64 v[10:11], v[6:7], v[30:31]
	v_add_f64 v[2:3], v[2:3], v[32:33]
	v_fma_f64 v[10:11], -0.5, v[10:11], v[0:1]
	v_add_f64 v[32:33], v[14:15], -v[18:19]
	v_fma_f64 v[14:15], s[0:1], v[32:33], v[10:11]
	v_fmac_f64_e32 v[10:11], s[18:19], v[32:33]
	v_fmac_f64_e32 v[14:15], s[20:21], v[22:23]
	;; [unrolled: 1-line block ×5, first 2 shown]
	v_add_f64 v[2:3], v[6:7], -v[26:27]
	v_add_f64 v[18:19], v[30:31], -v[28:29]
	v_fmac_f64_e32 v[20:21], s[16:17], v[34:35]
	v_fmac_f64_e32 v[4:5], s[16:17], v[34:35]
	v_add_f64 v[34:35], v[2:3], v[18:19]
	v_add_f64 v[2:3], v[26:27], v[28:29]
	v_fma_f64 v[2:3], -0.5, v[2:3], v[0:1]
	v_add_f64 v[0:1], v[0:1], v[6:7]
	v_add_f64 v[0:1], v[0:1], v[26:27]
	v_fma_f64 v[18:19], s[18:19], v[22:23], v[2:3]
	v_fmac_f64_e32 v[2:3], s[0:1], v[22:23]
	v_add_f64 v[0:1], v[0:1], v[28:29]
	v_fmac_f64_e32 v[18:19], s[20:21], v[32:33]
	v_fmac_f64_e32 v[2:3], s[6:7], v[32:33]
	v_add_f64 v[22:23], v[0:1], v[30:31]
	v_fmac_f64_e32 v[18:19], s[16:17], v[34:35]
	v_fmac_f64_e32 v[2:3], s[16:17], v[34:35]
	ds_write_b128 v8, v[22:25] offset:2720
	ds_write_b128 v8, v[2:5] offset:6256
	ds_write_b128 v8, v[10:13] offset:9792
	ds_write_b128 v8, v[14:17] offset:13328
	ds_write_b128 v8, v[18:21] offset:16864
.LBB0_21:
	s_or_b64 exec, exec, s[22:23]
	s_waitcnt lgkmcnt(0)
	s_barrier
	s_and_b64 exec, exec, s[4:5]
	s_cbranch_execz .LBB0_23
; %bb.22:
	global_load_dwordx4 v[0:3], v194, s[12:13]
	v_mad_u64_u32 v[12:13], s[0:1], s10, v200, 0
	ds_read_b128 v[4:7], v196
	v_mad_u64_u32 v[14:15], s[2:3], s8, v198, 0
	v_mov_b32_e32 v16, v13
	v_mov_b32_e32 v18, v15
	v_mad_u64_u32 v[16:17], s[2:3], s11, v200, v[16:17]
	v_mov_b32_e32 v10, s14
	v_mov_b32_e32 v11, s15
	;; [unrolled: 3-line block ×3, first 2 shown]
	v_lshl_add_u64 v[10:11], v[12:13], 4, v[10:11]
	s_mov_b32 s0, 0x1da7801e
	v_lshl_add_u64 v[18:19], v[14:15], 4, v[10:11]
	s_mov_b32 s1, 0x3f4da780
	s_mul_i32 s2, s9, 0x410
	v_mov_b32_e32 v195, 0
	s_movk_i32 s3, 0x1000
	s_waitcnt vmcnt(0) lgkmcnt(0)
	v_mul_f64 v[10:11], v[6:7], v[2:3]
	v_mul_f64 v[2:3], v[4:5], v[2:3]
	v_fmac_f64_e32 v[10:11], v[4:5], v[0:1]
	v_fma_f64 v[2:3], v[0:1], v[6:7], -v[2:3]
	v_mul_f64 v[0:1], v[10:11], s[0:1]
	v_mul_f64 v[2:3], v[2:3], s[0:1]
	global_store_dwordx4 v[18:19], v[0:3], off
	global_load_dwordx4 v[4:7], v194, s[12:13] offset:1040
	ds_read_b128 v[10:13], v8 offset:1040
	ds_read_b128 v[14:17], v8 offset:2080
	v_mov_b32_e32 v2, 0x410
	v_mad_u64_u32 v[0:1], s[4:5], s8, v2, v[18:19]
	v_add_u32_e32 v1, s2, v1
	s_waitcnt vmcnt(0) lgkmcnt(1)
	v_mul_f64 v[18:19], v[12:13], v[6:7]
	v_mul_f64 v[6:7], v[10:11], v[6:7]
	v_fmac_f64_e32 v[18:19], v[10:11], v[4:5]
	v_fma_f64 v[6:7], v[4:5], v[12:13], -v[6:7]
	v_mul_f64 v[4:5], v[18:19], s[0:1]
	v_mul_f64 v[6:7], v[6:7], s[0:1]
	global_store_dwordx4 v[0:1], v[4:7], off
	global_load_dwordx4 v[4:7], v194, s[12:13] offset:2080
	v_mad_u64_u32 v[18:19], s[4:5], s8, v2, v[0:1]
	v_add_u32_e32 v19, s2, v19
	s_waitcnt vmcnt(0) lgkmcnt(0)
	v_mul_f64 v[0:1], v[16:17], v[6:7]
	v_mul_f64 v[6:7], v[14:15], v[6:7]
	v_fmac_f64_e32 v[0:1], v[14:15], v[4:5]
	v_fma_f64 v[6:7], v[4:5], v[16:17], -v[6:7]
	v_mul_f64 v[4:5], v[0:1], s[0:1]
	v_mul_f64 v[6:7], v[6:7], s[0:1]
	global_store_dwordx4 v[18:19], v[4:7], off
	global_load_dwordx4 v[4:7], v194, s[12:13] offset:3120
	ds_read_b128 v[10:13], v8 offset:3120
	ds_read_b128 v[14:17], v8 offset:4160
	v_lshl_add_u64 v[0:1], s[12:13], 0, v[194:195]
	v_mad_u64_u32 v[18:19], s[4:5], s8, v2, v[18:19]
	v_add_co_u32_e32 v20, vcc, s3, v0
	v_add_u32_e32 v19, s2, v19
	s_nop 0
	v_addc_co_u32_e32 v21, vcc, 0, v1, vcc
	s_movk_i32 s3, 0x2000
	s_waitcnt vmcnt(0) lgkmcnt(1)
	v_mul_f64 v[22:23], v[12:13], v[6:7]
	v_mul_f64 v[6:7], v[10:11], v[6:7]
	v_fmac_f64_e32 v[22:23], v[10:11], v[4:5]
	v_fma_f64 v[6:7], v[4:5], v[12:13], -v[6:7]
	v_mul_f64 v[4:5], v[22:23], s[0:1]
	v_mul_f64 v[6:7], v[6:7], s[0:1]
	global_store_dwordx4 v[18:19], v[4:7], off
	global_load_dwordx4 v[4:7], v[20:21], off offset:64
	v_mad_u64_u32 v[18:19], s[4:5], s8, v2, v[18:19]
	v_add_u32_e32 v19, s2, v19
	s_waitcnt vmcnt(0) lgkmcnt(0)
	v_mul_f64 v[10:11], v[16:17], v[6:7]
	v_mul_f64 v[6:7], v[14:15], v[6:7]
	v_fmac_f64_e32 v[10:11], v[14:15], v[4:5]
	v_fma_f64 v[6:7], v[4:5], v[16:17], -v[6:7]
	v_mul_f64 v[4:5], v[10:11], s[0:1]
	v_mul_f64 v[6:7], v[6:7], s[0:1]
	global_store_dwordx4 v[18:19], v[4:7], off
	global_load_dwordx4 v[4:7], v[20:21], off offset:1104
	ds_read_b128 v[10:13], v8 offset:5200
	ds_read_b128 v[14:17], v8 offset:6240
	v_mad_u64_u32 v[18:19], s[4:5], s8, v2, v[18:19]
	v_add_u32_e32 v19, s2, v19
	s_waitcnt vmcnt(0) lgkmcnt(1)
	v_mul_f64 v[22:23], v[12:13], v[6:7]
	v_mul_f64 v[6:7], v[10:11], v[6:7]
	v_fmac_f64_e32 v[22:23], v[10:11], v[4:5]
	v_fma_f64 v[6:7], v[4:5], v[12:13], -v[6:7]
	v_mul_f64 v[4:5], v[22:23], s[0:1]
	v_mul_f64 v[6:7], v[6:7], s[0:1]
	global_store_dwordx4 v[18:19], v[4:7], off
	global_load_dwordx4 v[4:7], v[20:21], off offset:2144
	v_mad_u64_u32 v[18:19], s[4:5], s8, v2, v[18:19]
	v_add_u32_e32 v19, s2, v19
	s_waitcnt vmcnt(0) lgkmcnt(0)
	v_mul_f64 v[10:11], v[16:17], v[6:7]
	v_mul_f64 v[6:7], v[14:15], v[6:7]
	v_fmac_f64_e32 v[10:11], v[14:15], v[4:5]
	v_fma_f64 v[6:7], v[4:5], v[16:17], -v[6:7]
	v_mul_f64 v[4:5], v[10:11], s[0:1]
	v_mul_f64 v[6:7], v[6:7], s[0:1]
	global_store_dwordx4 v[18:19], v[4:7], off
	global_load_dwordx4 v[4:7], v[20:21], off offset:3184
	ds_read_b128 v[10:13], v8 offset:7280
	ds_read_b128 v[14:17], v8 offset:8320
	v_mad_u64_u32 v[18:19], s[4:5], s8, v2, v[18:19]
	v_add_co_u32_e32 v20, vcc, s3, v0
	v_add_u32_e32 v19, s2, v19
	s_nop 0
	v_addc_co_u32_e32 v21, vcc, 0, v1, vcc
	s_movk_i32 s3, 0x3000
	s_waitcnt vmcnt(0) lgkmcnt(1)
	v_mul_f64 v[22:23], v[12:13], v[6:7]
	v_mul_f64 v[6:7], v[10:11], v[6:7]
	v_fmac_f64_e32 v[22:23], v[10:11], v[4:5]
	v_fma_f64 v[6:7], v[4:5], v[12:13], -v[6:7]
	v_mul_f64 v[4:5], v[22:23], s[0:1]
	v_mul_f64 v[6:7], v[6:7], s[0:1]
	global_store_dwordx4 v[18:19], v[4:7], off
	global_load_dwordx4 v[4:7], v[20:21], off offset:128
	v_mad_u64_u32 v[18:19], s[4:5], s8, v2, v[18:19]
	v_add_u32_e32 v19, s2, v19
	s_waitcnt vmcnt(0) lgkmcnt(0)
	v_mul_f64 v[10:11], v[16:17], v[6:7]
	v_mul_f64 v[6:7], v[14:15], v[6:7]
	v_fmac_f64_e32 v[10:11], v[14:15], v[4:5]
	v_fma_f64 v[6:7], v[4:5], v[16:17], -v[6:7]
	v_mul_f64 v[4:5], v[10:11], s[0:1]
	v_mul_f64 v[6:7], v[6:7], s[0:1]
	global_store_dwordx4 v[18:19], v[4:7], off
	global_load_dwordx4 v[4:7], v[20:21], off offset:1168
	ds_read_b128 v[10:13], v8 offset:9360
	ds_read_b128 v[14:17], v8 offset:10400
	v_mad_u64_u32 v[18:19], s[4:5], s8, v2, v[18:19]
	v_add_u32_e32 v19, s2, v19
	s_waitcnt vmcnt(0) lgkmcnt(1)
	v_mul_f64 v[22:23], v[12:13], v[6:7]
	v_mul_f64 v[6:7], v[10:11], v[6:7]
	v_fmac_f64_e32 v[22:23], v[10:11], v[4:5]
	v_fma_f64 v[6:7], v[4:5], v[12:13], -v[6:7]
	v_mul_f64 v[4:5], v[22:23], s[0:1]
	v_mul_f64 v[6:7], v[6:7], s[0:1]
	global_store_dwordx4 v[18:19], v[4:7], off
	global_load_dwordx4 v[4:7], v[20:21], off offset:2208
	v_mad_u64_u32 v[18:19], s[4:5], s8, v2, v[18:19]
	v_add_u32_e32 v19, s2, v19
	s_waitcnt vmcnt(0) lgkmcnt(0)
	v_mul_f64 v[10:11], v[16:17], v[6:7]
	v_mul_f64 v[6:7], v[14:15], v[6:7]
	v_fmac_f64_e32 v[10:11], v[14:15], v[4:5]
	v_fma_f64 v[6:7], v[4:5], v[16:17], -v[6:7]
	v_mul_f64 v[4:5], v[10:11], s[0:1]
	v_mul_f64 v[6:7], v[6:7], s[0:1]
	global_store_dwordx4 v[18:19], v[4:7], off
	global_load_dwordx4 v[4:7], v[20:21], off offset:3248
	ds_read_b128 v[10:13], v8 offset:11440
	ds_read_b128 v[14:17], v8 offset:12480
	v_mad_u64_u32 v[18:19], s[4:5], s8, v2, v[18:19]
	v_add_co_u32_e32 v20, vcc, s3, v0
	v_add_u32_e32 v19, s2, v19
	s_nop 0
	v_addc_co_u32_e32 v21, vcc, 0, v1, vcc
	s_movk_i32 s3, 0x4000
	v_add_co_u32_e32 v0, vcc, s3, v0
	s_waitcnt vmcnt(0) lgkmcnt(1)
	v_mul_f64 v[22:23], v[12:13], v[6:7]
	v_mul_f64 v[6:7], v[10:11], v[6:7]
	v_fmac_f64_e32 v[22:23], v[10:11], v[4:5]
	v_fma_f64 v[6:7], v[4:5], v[12:13], -v[6:7]
	v_mul_f64 v[4:5], v[22:23], s[0:1]
	v_mul_f64 v[6:7], v[6:7], s[0:1]
	global_store_dwordx4 v[18:19], v[4:7], off
	global_load_dwordx4 v[4:7], v[20:21], off offset:192
	v_mad_u64_u32 v[18:19], s[4:5], s8, v2, v[18:19]
	v_add_u32_e32 v19, s2, v19
	v_addc_co_u32_e32 v1, vcc, 0, v1, vcc
	s_waitcnt vmcnt(0) lgkmcnt(0)
	v_mul_f64 v[10:11], v[16:17], v[6:7]
	v_mul_f64 v[6:7], v[14:15], v[6:7]
	v_fmac_f64_e32 v[10:11], v[14:15], v[4:5]
	v_fma_f64 v[6:7], v[4:5], v[16:17], -v[6:7]
	v_mul_f64 v[4:5], v[10:11], s[0:1]
	v_mul_f64 v[6:7], v[6:7], s[0:1]
	global_store_dwordx4 v[18:19], v[4:7], off
	global_load_dwordx4 v[4:7], v[20:21], off offset:1232
	ds_read_b128 v[10:13], v8 offset:13520
	ds_read_b128 v[14:17], v8 offset:14560
	v_mad_u64_u32 v[18:19], s[4:5], s8, v2, v[18:19]
	v_add_u32_e32 v19, s2, v19
	s_waitcnt vmcnt(0) lgkmcnt(1)
	v_mul_f64 v[22:23], v[12:13], v[6:7]
	v_mul_f64 v[6:7], v[10:11], v[6:7]
	v_fmac_f64_e32 v[22:23], v[10:11], v[4:5]
	v_fma_f64 v[6:7], v[4:5], v[12:13], -v[6:7]
	v_mul_f64 v[4:5], v[22:23], s[0:1]
	v_mul_f64 v[6:7], v[6:7], s[0:1]
	global_store_dwordx4 v[18:19], v[4:7], off
	global_load_dwordx4 v[4:7], v[20:21], off offset:2272
	v_mad_u64_u32 v[18:19], s[4:5], s8, v2, v[18:19]
	v_add_u32_e32 v19, s2, v19
	s_waitcnt vmcnt(0) lgkmcnt(0)
	v_mul_f64 v[10:11], v[16:17], v[6:7]
	v_mul_f64 v[6:7], v[14:15], v[6:7]
	v_fmac_f64_e32 v[10:11], v[14:15], v[4:5]
	v_fma_f64 v[6:7], v[4:5], v[16:17], -v[6:7]
	v_mul_f64 v[4:5], v[10:11], s[0:1]
	v_mul_f64 v[6:7], v[6:7], s[0:1]
	global_store_dwordx4 v[18:19], v[4:7], off
	global_load_dwordx4 v[4:7], v[20:21], off offset:3312
	ds_read_b128 v[10:13], v8 offset:15600
	ds_read_b128 v[14:17], v8 offset:16640
	v_mad_u64_u32 v[8:9], s[4:5], s8, v2, v[18:19]
	v_add_u32_e32 v9, s2, v9
	s_waitcnt vmcnt(0) lgkmcnt(1)
	v_mul_f64 v[18:19], v[12:13], v[6:7]
	v_mul_f64 v[6:7], v[10:11], v[6:7]
	v_fmac_f64_e32 v[18:19], v[10:11], v[4:5]
	v_fma_f64 v[6:7], v[4:5], v[12:13], -v[6:7]
	v_mul_f64 v[4:5], v[18:19], s[0:1]
	v_mul_f64 v[6:7], v[6:7], s[0:1]
	global_store_dwordx4 v[8:9], v[4:7], off
	global_load_dwordx4 v[4:7], v[0:1], off offset:256
	v_mad_u64_u32 v[8:9], s[4:5], s8, v2, v[8:9]
	v_add_u32_e32 v9, s2, v9
	s_waitcnt vmcnt(0) lgkmcnt(0)
	v_mul_f64 v[0:1], v[16:17], v[6:7]
	v_mul_f64 v[2:3], v[14:15], v[6:7]
	v_fmac_f64_e32 v[0:1], v[14:15], v[4:5]
	v_fma_f64 v[2:3], v[4:5], v[16:17], -v[2:3]
	v_mul_f64 v[0:1], v[0:1], s[0:1]
	v_mul_f64 v[2:3], v[2:3], s[0:1]
	global_store_dwordx4 v[8:9], v[0:3], off
.LBB0_23:
	s_endpgm
	.section	.rodata,"a",@progbits
	.p2align	6, 0x0
	.amdhsa_kernel bluestein_single_fwd_len1105_dim1_dp_op_CI_CI
		.amdhsa_group_segment_fixed_size 53040
		.amdhsa_private_segment_fixed_size 0
		.amdhsa_kernarg_size 104
		.amdhsa_user_sgpr_count 2
		.amdhsa_user_sgpr_dispatch_ptr 0
		.amdhsa_user_sgpr_queue_ptr 0
		.amdhsa_user_sgpr_kernarg_segment_ptr 1
		.amdhsa_user_sgpr_dispatch_id 0
		.amdhsa_user_sgpr_kernarg_preload_length 0
		.amdhsa_user_sgpr_kernarg_preload_offset 0
		.amdhsa_user_sgpr_private_segment_size 0
		.amdhsa_uses_dynamic_stack 0
		.amdhsa_enable_private_segment 0
		.amdhsa_system_sgpr_workgroup_id_x 1
		.amdhsa_system_sgpr_workgroup_id_y 0
		.amdhsa_system_sgpr_workgroup_id_z 0
		.amdhsa_system_sgpr_workgroup_info 0
		.amdhsa_system_vgpr_workitem_id 0
		.amdhsa_next_free_vgpr 376
		.amdhsa_next_free_sgpr 64
		.amdhsa_accum_offset 256
		.amdhsa_reserve_vcc 1
		.amdhsa_float_round_mode_32 0
		.amdhsa_float_round_mode_16_64 0
		.amdhsa_float_denorm_mode_32 3
		.amdhsa_float_denorm_mode_16_64 3
		.amdhsa_dx10_clamp 1
		.amdhsa_ieee_mode 1
		.amdhsa_fp16_overflow 0
		.amdhsa_tg_split 0
		.amdhsa_exception_fp_ieee_invalid_op 0
		.amdhsa_exception_fp_denorm_src 0
		.amdhsa_exception_fp_ieee_div_zero 0
		.amdhsa_exception_fp_ieee_overflow 0
		.amdhsa_exception_fp_ieee_underflow 0
		.amdhsa_exception_fp_ieee_inexact 0
		.amdhsa_exception_int_div_zero 0
	.end_amdhsa_kernel
	.text
.Lfunc_end0:
	.size	bluestein_single_fwd_len1105_dim1_dp_op_CI_CI, .Lfunc_end0-bluestein_single_fwd_len1105_dim1_dp_op_CI_CI
                                        ; -- End function
	.section	.AMDGPU.csdata,"",@progbits
; Kernel info:
; codeLenInByte = 32552
; NumSgprs: 70
; NumVgprs: 256
; NumAgprs: 120
; TotalNumVgprs: 376
; ScratchSize: 0
; MemoryBound: 0
; FloatMode: 240
; IeeeMode: 1
; LDSByteSize: 53040 bytes/workgroup (compile time only)
; SGPRBlocks: 8
; VGPRBlocks: 46
; NumSGPRsForWavesPerEU: 70
; NumVGPRsForWavesPerEU: 376
; AccumOffset: 256
; Occupancy: 1
; WaveLimiterHint : 1
; COMPUTE_PGM_RSRC2:SCRATCH_EN: 0
; COMPUTE_PGM_RSRC2:USER_SGPR: 2
; COMPUTE_PGM_RSRC2:TRAP_HANDLER: 0
; COMPUTE_PGM_RSRC2:TGID_X_EN: 1
; COMPUTE_PGM_RSRC2:TGID_Y_EN: 0
; COMPUTE_PGM_RSRC2:TGID_Z_EN: 0
; COMPUTE_PGM_RSRC2:TIDIG_COMP_CNT: 0
; COMPUTE_PGM_RSRC3_GFX90A:ACCUM_OFFSET: 63
; COMPUTE_PGM_RSRC3_GFX90A:TG_SPLIT: 0
	.text
	.p2alignl 6, 3212836864
	.fill 256, 4, 3212836864
	.type	__hip_cuid_f619240052d23729,@object ; @__hip_cuid_f619240052d23729
	.section	.bss,"aw",@nobits
	.globl	__hip_cuid_f619240052d23729
__hip_cuid_f619240052d23729:
	.byte	0                               ; 0x0
	.size	__hip_cuid_f619240052d23729, 1

	.ident	"AMD clang version 19.0.0git (https://github.com/RadeonOpenCompute/llvm-project roc-6.4.0 25133 c7fe45cf4b819c5991fe208aaa96edf142730f1d)"
	.section	".note.GNU-stack","",@progbits
	.addrsig
	.addrsig_sym __hip_cuid_f619240052d23729
	.amdgpu_metadata
---
amdhsa.kernels:
  - .agpr_count:     120
    .args:
      - .actual_access:  read_only
        .address_space:  global
        .offset:         0
        .size:           8
        .value_kind:     global_buffer
      - .actual_access:  read_only
        .address_space:  global
        .offset:         8
        .size:           8
        .value_kind:     global_buffer
      - .actual_access:  read_only
        .address_space:  global
        .offset:         16
        .size:           8
        .value_kind:     global_buffer
      - .actual_access:  read_only
        .address_space:  global
        .offset:         24
        .size:           8
        .value_kind:     global_buffer
      - .actual_access:  read_only
        .address_space:  global
        .offset:         32
        .size:           8
        .value_kind:     global_buffer
      - .offset:         40
        .size:           8
        .value_kind:     by_value
      - .address_space:  global
        .offset:         48
        .size:           8
        .value_kind:     global_buffer
      - .address_space:  global
        .offset:         56
        .size:           8
        .value_kind:     global_buffer
      - .address_space:  global
        .offset:         64
        .size:           8
        .value_kind:     global_buffer
      - .address_space:  global
        .offset:         72
        .size:           8
        .value_kind:     global_buffer
      - .offset:         80
        .size:           4
        .value_kind:     by_value
      - .address_space:  global
        .offset:         88
        .size:           8
        .value_kind:     global_buffer
      - .address_space:  global
        .offset:         96
        .size:           8
        .value_kind:     global_buffer
    .group_segment_fixed_size: 53040
    .kernarg_segment_align: 8
    .kernarg_segment_size: 104
    .language:       OpenCL C
    .language_version:
      - 2
      - 0
    .max_flat_workgroup_size: 255
    .name:           bluestein_single_fwd_len1105_dim1_dp_op_CI_CI
    .private_segment_fixed_size: 0
    .sgpr_count:     70
    .sgpr_spill_count: 0
    .symbol:         bluestein_single_fwd_len1105_dim1_dp_op_CI_CI.kd
    .uniform_work_group_size: 1
    .uses_dynamic_stack: false
    .vgpr_count:     376
    .vgpr_spill_count: 0
    .wavefront_size: 64
amdhsa.target:   amdgcn-amd-amdhsa--gfx950
amdhsa.version:
  - 1
  - 2
...

	.end_amdgpu_metadata
